;; amdgpu-corpus repo=ROCm/rocFFT kind=compiled arch=gfx1100 opt=O3
	.text
	.amdgcn_target "amdgcn-amd-amdhsa--gfx1100"
	.amdhsa_code_object_version 6
	.protected	bluestein_single_fwd_len2880_dim1_sp_op_CI_CI ; -- Begin function bluestein_single_fwd_len2880_dim1_sp_op_CI_CI
	.globl	bluestein_single_fwd_len2880_dim1_sp_op_CI_CI
	.p2align	8
	.type	bluestein_single_fwd_len2880_dim1_sp_op_CI_CI,@function
bluestein_single_fwd_len2880_dim1_sp_op_CI_CI: ; @bluestein_single_fwd_len2880_dim1_sp_op_CI_CI
; %bb.0:
	s_load_b128 s[16:19], s[0:1], 0x28
	v_mul_u32_u24_e32 v1, 0x2ab, v0
	s_mov_b32 s2, exec_lo
	v_mov_b32_e32 v2, 0
	s_delay_alu instid0(VALU_DEP_2) | instskip(NEXT) | instid1(VALU_DEP_1)
	v_lshrrev_b32_e32 v3, 16, v1
	v_add_nc_u32_e32 v1, s15, v3
	s_waitcnt lgkmcnt(0)
	s_delay_alu instid0(VALU_DEP_1)
	v_cmpx_gt_u64_e64 s[16:17], v[1:2]
	s_cbranch_execz .LBB0_2
; %bb.1:
	s_clause 0x2
	s_load_b128 s[4:7], s[0:1], 0x0
	s_load_b128 s[8:11], s[0:1], 0x18
	s_load_b64 s[12:13], s[0:1], 0x38
	v_mul_lo_u16 v2, 0x60, v3
	s_delay_alu instid0(VALU_DEP_1)
	v_sub_nc_u16 v145, v0, v2
	s_waitcnt lgkmcnt(0)
	s_load_b128 s[0:3], s[10:11], 0x0
	s_load_b128 s[8:11], s[8:9], 0x0
	s_waitcnt lgkmcnt(0)
	v_mad_u64_u32 v[4:5], null, s2, v1, 0
	s_add_u32 s2, s4, 0x5a00
	s_mul_i32 s16, s9, 0xffffb200
	s_mul_i32 s14, s9, 0x1200
	s_mul_hi_u32 s15, s8, 0x1200
	s_delay_alu instid0(VALU_DEP_1) | instskip(NEXT) | instid1(VALU_DEP_1)
	v_mov_b32_e32 v0, v5
	v_mad_u64_u32 v[2:3], null, s3, v1, v[0:1]
	v_and_b32_e32 v6, 0xffff, v145
	s_addc_u32 s3, s5, 0
	s_sub_i32 s16, s16, s8
	s_add_i32 s14, s15, s14
	s_mul_i32 s15, s8, 0x1200
	s_delay_alu instid0(VALU_DEP_2)
	v_mov_b32_e32 v5, v2
	v_mad_u64_u32 v[2:3], null, s10, v1, 0
	v_mov_b32_e32 v22, v6
	v_lshlrev_b32_e32 v160, 3, v6
	scratch_store_b64 off, v[4:5], off offset:172 ; 8-byte Folded Spill
	v_or_b32_e32 v215, 0x180, v22
	v_dual_mov_b32 v0, v3 :: v_dual_add_nc_u32 v149, 0x360, v22
	v_add_co_u32 v10, s10, s4, v160
	s_delay_alu instid0(VALU_DEP_1) | instskip(NEXT) | instid1(VALU_DEP_3)
	v_add_co_ci_u32_e64 v11, null, s5, 0, s10
	v_mad_u64_u32 v[3:4], null, s11, v1, v[0:1]
	v_mad_u64_u32 v[0:1], null, s8, v6, 0
	v_add_co_u32 v150, s10, 0x120, v6
	s_delay_alu instid0(VALU_DEP_1) | instskip(SKIP_2) | instid1(VALU_DEP_3)
	v_add_co_ci_u32_e64 v151, null, 0, 0, s10
	s_mul_i32 s10, s9, 0x900
	s_mul_hi_u32 s11, s8, 0x900
	v_mad_u64_u32 v[4:5], null, s9, v6, v[1:2]
	v_lshlrev_b64 v[2:3], 3, v[2:3]
	s_add_i32 s10, s11, s10
	s_mul_i32 s11, s8, 0x900
	v_dual_mov_b32 v161, v215 :: v_dual_and_b32 v116, 0xffff, v150
	s_delay_alu instid0(VALU_DEP_3) | instskip(NEXT) | instid1(VALU_DEP_3)
	v_mov_b32_e32 v1, v4
	v_add_co_u32 v24, vcc_lo, s18, v2
	v_add_co_ci_u32_e32 v25, vcc_lo, s19, v3, vcc_lo
	s_delay_alu instid0(VALU_DEP_3)
	v_lshlrev_b64 v[0:1], 3, v[0:1]
	global_load_b64 v[4:5], v160, s[4:5]
	v_add_co_u32 v0, vcc_lo, v24, v0
	v_add_co_ci_u32_e32 v1, vcc_lo, v25, v1, vcc_lo
	global_load_b64 v[2:3], v[0:1], off
	v_add_co_u32 v0, vcc_lo, v0, s11
	v_add_co_ci_u32_e32 v1, vcc_lo, s10, v1, vcc_lo
	s_waitcnt vmcnt(1)
	scratch_store_b64 off, v[4:5], off offset:204 ; 8-byte Folded Spill
	s_waitcnt vmcnt(0)
	v_mul_f32_e32 v8, v3, v5
	s_delay_alu instid0(VALU_DEP_1) | instskip(SKIP_1) | instid1(VALU_DEP_1)
	v_fmac_f32_e32 v8, v2, v4
	v_mul_f32_e32 v2, v2, v5
	v_fma_f32 v9, v3, v4, -v2
	global_load_b64 v[2:3], v[0:1], off
	global_load_b64 v[5:6], v160, s[4:5] offset:2304
	v_add_co_u32 v0, vcc_lo, v0, s11
	v_add_co_ci_u32_e32 v1, vcc_lo, s10, v1, vcc_lo
	s_waitcnt vmcnt(0)
	v_mul_f32_e32 v4, v3, v6
	scratch_store_b64 off, v[5:6], off offset:196 ; 8-byte Folded Spill
	v_fmac_f32_e32 v4, v2, v5
	v_mul_f32_e32 v2, v2, v6
	s_delay_alu instid0(VALU_DEP_1)
	v_fma_f32 v5, v3, v5, -v2
	v_add_co_u32 v2, vcc_lo, 0x1000, v10
	v_add_co_ci_u32_e32 v3, vcc_lo, 0, v11, vcc_lo
	ds_store_b64 v160, v[4:5] offset:2304
	global_load_b64 v[4:5], v[0:1], off
	v_add_co_u32 v0, vcc_lo, v0, s11
	global_load_b64 v[12:13], v[2:3], off offset:512
	v_add_co_ci_u32_e32 v1, vcc_lo, s10, v1, vcc_lo
	s_waitcnt vmcnt(0)
	v_mul_f32_e32 v6, v5, v13
	scratch_store_b64 off, v[12:13], off offset:188 ; 8-byte Folded Spill
	v_fmac_f32_e32 v6, v4, v12
	v_mul_f32_e32 v4, v4, v13
	s_delay_alu instid0(VALU_DEP_1)
	v_fma_f32 v7, v5, v12, -v4
	ds_store_b64 v160, v[6:7] offset:4608
	global_load_b64 v[4:5], v[0:1], off
	global_load_b64 v[12:13], v[2:3], off offset:2816
	s_waitcnt vmcnt(0)
	v_mul_f32_e32 v6, v5, v13
	scratch_store_b64 off, v[12:13], off offset:180 ; 8-byte Folded Spill
	v_fmac_f32_e32 v6, v4, v12
	v_mul_f32_e32 v4, v4, v13
	s_delay_alu instid0(VALU_DEP_1) | instskip(SKIP_4) | instid1(VALU_DEP_2)
	v_fma_f32 v7, v5, v12, -v4
	v_or_b32_e32 v12, 0x480, v22
	ds_store_b64 v160, v[6:7] offset:6912
	v_mad_u64_u32 v[4:5], null, s8, v12, 0
	v_mov_b32_e32 v198, v12
	v_mad_u64_u32 v[6:7], null, s9, v12, v[5:6]
	s_delay_alu instid0(VALU_DEP_1) | instskip(SKIP_3) | instid1(VALU_DEP_4)
	v_dual_mov_b32 v5, v6 :: v_dual_lshlrev_b32 v6, 3, v12
	v_add_nc_u32_e32 v140, 0x800, v160
	v_add_nc_u32_e32 v200, 0x1400, v160
	;; [unrolled: 1-line block ×3, first 2 shown]
	v_lshlrev_b64 v[4:5], 3, v[4:5]
	global_load_b64 v[12:13], v6, s[4:5]
	scratch_store_b32 off, v6, off offset:276 ; 4-byte Folded Spill
	v_add_nc_u32_e32 v142, 0x3400, v160
	v_add_nc_u32_e32 v141, 0x5000, v160
	;; [unrolled: 1-line block ×3, first 2 shown]
	v_add_co_u32 v4, vcc_lo, v24, v4
	v_add_co_ci_u32_e32 v5, vcc_lo, v25, v5, vcc_lo
	v_add_co_u32 v0, vcc_lo, v0, s15
	v_add_co_ci_u32_e32 v1, vcc_lo, s14, v1, vcc_lo
	global_load_b64 v[4:5], v[4:5], off
	s_waitcnt vmcnt(1)
	scratch_store_b64 off, v[12:13], off offset:236 ; 8-byte Folded Spill
	s_waitcnt vmcnt(0)
	v_mul_f32_e32 v6, v5, v13
	s_delay_alu instid0(VALU_DEP_1) | instskip(SKIP_1) | instid1(VALU_DEP_1)
	v_fmac_f32_e32 v6, v4, v12
	v_mul_f32_e32 v4, v4, v13
	v_fma_f32 v7, v5, v12, -v4
	v_add_co_u32 v4, vcc_lo, 0x2000, v10
	v_add_co_ci_u32_e32 v5, vcc_lo, 0, v11, vcc_lo
	ds_store_b64 v160, v[6:7] offset:9216
	global_load_b64 v[6:7], v[0:1], off
	v_add_co_u32 v0, vcc_lo, v0, s11
	global_load_b64 v[13:14], v[4:5], off offset:3328
	v_add_co_ci_u32_e32 v1, vcc_lo, s10, v1, vcc_lo
	s_waitcnt vmcnt(0)
	v_mul_f32_e32 v12, v7, v14
	scratch_store_b64 off, v[13:14], off offset:228 ; 8-byte Folded Spill
	v_fmac_f32_e32 v12, v6, v13
	v_mul_f32_e32 v6, v6, v14
	s_delay_alu instid0(VALU_DEP_1)
	v_fma_f32 v13, v7, v13, -v6
	v_add_co_u32 v6, vcc_lo, 0x3000, v10
	v_add_co_ci_u32_e32 v7, vcc_lo, 0, v11, vcc_lo
	ds_store_b64 v160, v[12:13] offset:11520
	global_load_b64 v[12:13], v[0:1], off
	v_add_co_u32 v0, vcc_lo, v0, s11
	global_load_b64 v[15:16], v[6:7], off offset:1536
	v_add_co_ci_u32_e32 v1, vcc_lo, s10, v1, vcc_lo
	s_waitcnt vmcnt(0)
	v_mul_f32_e32 v14, v13, v16
	scratch_store_b64 off, v[15:16], off offset:220 ; 8-byte Folded Spill
	v_fmac_f32_e32 v14, v12, v15
	v_mul_f32_e32 v12, v12, v16
	s_delay_alu instid0(VALU_DEP_1)
	v_fma_f32 v15, v13, v15, -v12
	ds_store_b64 v160, v[14:15] offset:13824
	global_load_b64 v[12:13], v[0:1], off
	global_load_b64 v[15:16], v[6:7], off offset:3840
	s_waitcnt vmcnt(0)
	v_mul_f32_e32 v14, v13, v16
	scratch_store_b64 off, v[15:16], off offset:212 ; 8-byte Folded Spill
	v_fmac_f32_e32 v14, v12, v15
	v_mul_f32_e32 v12, v12, v16
	v_or_b32_e32 v16, 0x900, v22
	s_delay_alu instid0(VALU_DEP_2) | instskip(NEXT) | instid1(VALU_DEP_2)
	v_fma_f32 v15, v13, v15, -v12
	v_mad_u64_u32 v[12:13], null, s8, v16, 0
	ds_store_b64 v160, v[14:15] offset:16128
	v_mad_u64_u32 v[14:15], null, s9, v16, v[13:14]
	s_delay_alu instid0(VALU_DEP_1)
	v_dual_mov_b32 v13, v14 :: v_dual_lshlrev_b32 v14, 3, v16
	scratch_store_b32 off, v16, off offset:244 ; 4-byte Folded Spill
	v_lshlrev_b64 v[12:13], 3, v[12:13]
	scratch_store_b32 off, v14, off offset:292 ; 4-byte Folded Spill
	global_load_b64 v[14:15], v14, s[4:5]
	v_add_co_u32 v12, vcc_lo, v24, v12
	v_add_co_ci_u32_e32 v13, vcc_lo, v25, v13, vcc_lo
	global_load_b64 v[12:13], v[12:13], off
	s_waitcnt vmcnt(1)
	v_mov_b32_e32 v16, v15
	v_mov_b32_e32 v15, v14
	scratch_store_b64 off, v[15:16], off offset:248 ; 8-byte Folded Spill
	s_waitcnt vmcnt(0)
	v_mul_f32_e32 v14, v13, v16
	s_delay_alu instid0(VALU_DEP_1) | instskip(SKIP_1) | instid1(VALU_DEP_1)
	v_fmac_f32_e32 v14, v12, v15
	v_mul_f32_e32 v12, v12, v16
	v_fma_f32 v15, v13, v15, -v12
	v_add_co_u32 v12, vcc_lo, v0, s15
	v_add_co_ci_u32_e32 v13, vcc_lo, s14, v1, vcc_lo
	v_add_co_u32 v0, vcc_lo, 0x5000, v10
	v_add_co_ci_u32_e32 v1, vcc_lo, 0, v11, vcc_lo
	ds_store_b64 v160, v[14:15] offset:18432
	global_load_b64 v[14:15], v[12:13], off
	global_load_b64 v[17:18], v[0:1], off offset:256
	s_waitcnt vmcnt(0)
	v_mul_f32_e32 v16, v15, v18
	scratch_store_b64 off, v[17:18], off offset:256 ; 8-byte Folded Spill
	v_fmac_f32_e32 v16, v14, v17
	v_mul_f32_e32 v14, v14, v18
	s_delay_alu instid0(VALU_DEP_1)
	v_fma_f32 v17, v15, v17, -v14
	v_mad_u64_u32 v[14:15], null, 0xffffb200, s8, v[12:13]
	ds_store_b64 v160, v[16:17] offset:20736
	v_add_nc_u32_e32 v15, s16, v15
	global_load_b64 v[12:13], v[14:15], off
	global_load_b64 v[17:18], v160, s[4:5] offset:768
	s_waitcnt vmcnt(0)
	v_mul_f32_e32 v16, v13, v18
	scratch_store_b64 off, v[17:18], off offset:164 ; 8-byte Folded Spill
	v_fmac_f32_e32 v16, v12, v17
	v_mul_f32_e32 v12, v12, v18
	s_delay_alu instid0(VALU_DEP_1) | instskip(SKIP_2) | instid1(VALU_DEP_1)
	v_fma_f32 v17, v13, v17, -v12
	ds_store_2addr_b64 v160, v[8:9], v[16:17] offset1:96
	v_mad_u64_u32 v[8:9], null, s8, v215, 0
	v_mad_u64_u32 v[12:13], null, s9, v215, v[9:10]
	v_add_nc_u32_e32 v215, 0x3000, v160
	s_delay_alu instid0(VALU_DEP_1) | instskip(NEXT) | instid1(VALU_DEP_3)
	v_mov_b32_e32 v205, v215
	v_mov_b32_e32 v9, v12
	v_add_co_u32 v112, null, 0x60, v22
	v_add_co_u32 v147, s16, 0x2a0, v22
	s_delay_alu instid0(VALU_DEP_3) | instskip(SKIP_3) | instid1(VALU_DEP_4)
	v_lshlrev_b64 v[8:9], 3, v[8:9]
	v_add_nc_u32_e32 v153, 0x3c0, v22
	v_dual_mov_b32 v35, v22 :: v_dual_add_nc_u32 v152, 0x4e0, v22
	v_add_co_ci_u32_e64 v148, null, 0, 0, s16
	v_add_co_u32 v8, vcc_lo, v24, v8
	v_add_co_ci_u32_e32 v9, vcc_lo, v25, v9, vcc_lo
	global_load_b64 v[8:9], v[8:9], off
	global_load_b64 v[12:13], v160, s[4:5] offset:3072
	v_or_b32_e32 v32, 0xa80, v35
	s_mul_i32 s16, s9, 0xffffbb00
	v_mov_b32_e32 v159, v35
	s_sub_i32 s16, s16, s8
	v_add_co_u32 v113, null, 0xc0, v35
	v_add_co_u32 v155, null, 0x420, v35
	v_and_b32_e32 v114, 0xff, v112
	s_delay_alu instid0(VALU_DEP_3)
	v_and_b32_e32 v115, 0xffff, v113
	s_waitcnt vmcnt(0)
	v_mul_f32_e32 v26, v9, v13
	scratch_store_b64 off, v[12:13], off offset:156 ; 8-byte Folded Spill
	v_fmac_f32_e32 v26, v8, v12
	v_mul_f32_e32 v8, v8, v13
	s_delay_alu instid0(VALU_DEP_1)
	v_fma_f32 v27, v9, v12, -v8
	v_add_co_u32 v8, vcc_lo, v14, s15
	v_add_co_ci_u32_e32 v9, vcc_lo, s14, v15, vcc_lo
	global_load_b64 v[12:13], v[8:9], off
	global_load_b64 v[14:15], v[2:3], off offset:1280
	v_add_co_u32 v8, vcc_lo, v8, s11
	v_add_co_ci_u32_e32 v9, vcc_lo, s10, v9, vcc_lo
	s_waitcnt vmcnt(0)
	v_mul_f32_e32 v20, v13, v15
	scratch_store_b64 off, v[14:15], off offset:136 ; 8-byte Folded Spill
	v_fmac_f32_e32 v20, v12, v14
	v_mul_f32_e32 v12, v12, v15
	s_delay_alu instid0(VALU_DEP_1)
	v_fma_f32 v21, v13, v14, -v12
	global_load_b64 v[12:13], v[8:9], off
	global_load_b64 v[14:15], v[2:3], off offset:3584
	s_waitcnt vmcnt(0)
	v_mul_f32_e32 v2, v12, v15
	v_mul_f32_e32 v18, v13, v15
	scratch_store_b64 off, v[14:15], off offset:128 ; 8-byte Folded Spill
	v_fma_f32 v19, v13, v14, -v2
	v_add_co_u32 v2, vcc_lo, v8, s11
	v_add_co_ci_u32_e32 v3, vcc_lo, s10, v9, vcc_lo
	v_fmac_f32_e32 v18, v12, v14
	global_load_b64 v[8:9], v[2:3], off
	global_load_b64 v[12:13], v[4:5], off offset:1792
	v_or_b32_e32 v14, 0x600, v22
	s_waitcnt vmcnt(0)
	v_mul_f32_e32 v16, v9, v13
	scratch_store_b64 off, v[12:13], off offset:120 ; 8-byte Folded Spill
	v_fmac_f32_e32 v16, v8, v12
	v_mul_f32_e32 v8, v8, v13
	s_delay_alu instid0(VALU_DEP_1) | instskip(SKIP_1) | instid1(VALU_DEP_1)
	v_fma_f32 v17, v9, v12, -v8
	v_mad_u64_u32 v[8:9], null, s8, v14, 0
	v_mad_u64_u32 v[12:13], null, s9, v14, v[9:10]
	s_delay_alu instid0(VALU_DEP_1) | instskip(NEXT) | instid1(VALU_DEP_1)
	v_dual_mov_b32 v9, v12 :: v_dual_lshlrev_b32 v12, 3, v14
	v_lshlrev_b64 v[8:9], 3, v[8:9]
	scratch_store_b32 off, v12, off offset:284 ; 4-byte Folded Spill
	global_load_b64 v[12:13], v12, s[4:5]
	scratch_store_b32 off, v14, off offset:108 ; 4-byte Folded Spill
	v_add_co_u32 v8, vcc_lo, v24, v8
	v_add_co_ci_u32_e32 v9, vcc_lo, v25, v9, vcc_lo
	v_add_co_u32 v2, vcc_lo, v2, s15
	v_add_co_ci_u32_e32 v3, vcc_lo, s14, v3, vcc_lo
	global_load_b64 v[8:9], v[8:9], off
	s_waitcnt vmcnt(1)
	scratch_store_b64 off, v[12:13], off offset:112 ; 8-byte Folded Spill
	s_waitcnt vmcnt(0)
	v_mul_f32_e32 v22, v9, v13
	s_delay_alu instid0(VALU_DEP_1) | instskip(SKIP_1) | instid1(VALU_DEP_1)
	v_fmac_f32_e32 v22, v8, v12
	v_mul_f32_e32 v8, v8, v13
	v_fma_f32 v23, v9, v12, -v8
	global_load_b64 v[8:9], v[2:3], off
	global_load_b64 v[12:13], v[6:7], off offset:2304
	v_add_co_u32 v2, vcc_lo, v2, s11
	v_add_co_ci_u32_e32 v3, vcc_lo, s10, v3, vcc_lo
	global_load_b64 v[28:29], v[2:3], off
	s_waitcnt vmcnt(1)
	v_mul_f32_e32 v14, v9, v13
	s_delay_alu instid0(VALU_DEP_1) | instskip(SKIP_1) | instid1(VALU_DEP_1)
	v_fmac_f32_e32 v14, v8, v12
	v_mul_f32_e32 v8, v8, v13
	v_fma_f32 v15, v9, v12, -v8
	v_add_co_u32 v8, vcc_lo, 0x4000, v10
	v_add_co_ci_u32_e32 v9, vcc_lo, 0, v11, vcc_lo
	global_load_b64 v[30:31], v[8:9], off offset:512
	scratch_store_b64 off, v[12:13], off offset:72 ; 8-byte Folded Spill
	s_waitcnt vmcnt(0)
	scratch_store_b64 off, v[30:31], off offset:56 ; 8-byte Folded Spill
	v_mul_f32_e32 v12, v29, v31
	v_mul_f32_e32 v10, v28, v31
	s_delay_alu instid0(VALU_DEP_2) | instskip(SKIP_1) | instid1(VALU_DEP_3)
	v_fmac_f32_e32 v12, v28, v30
	v_add_co_u32 v28, vcc_lo, v2, s11
	v_fma_f32 v13, v29, v30, -v10
	v_add_co_ci_u32_e32 v29, vcc_lo, s10, v3, vcc_lo
	global_load_b64 v[2:3], v[28:29], off
	global_load_b64 v[30:31], v[8:9], off offset:2816
	scratch_store_b32 off, v32, off offset:152 ; 4-byte Folded Spill
	s_waitcnt vmcnt(0)
	v_mul_f32_e32 v10, v3, v31
	scratch_store_b64 off, v[30:31], off offset:24 ; 8-byte Folded Spill
	v_fmac_f32_e32 v10, v2, v30
	v_mul_f32_e32 v2, v2, v31
	s_delay_alu instid0(VALU_DEP_1) | instskip(SKIP_1) | instid1(VALU_DEP_1)
	v_fma_f32 v11, v3, v30, -v2
	v_mad_u64_u32 v[2:3], null, s8, v32, 0
	v_mad_u64_u32 v[30:31], null, s9, v32, v[3:4]
	s_delay_alu instid0(VALU_DEP_1) | instskip(NEXT) | instid1(VALU_DEP_1)
	v_mov_b32_e32 v3, v30
	v_lshlrev_b64 v[2:3], 3, v[2:3]
	s_delay_alu instid0(VALU_DEP_1) | instskip(NEXT) | instid1(VALU_DEP_2)
	v_add_co_u32 v2, vcc_lo, v24, v2
	v_add_co_ci_u32_e32 v3, vcc_lo, v25, v3, vcc_lo
	global_load_b64 v[30:31], v[2:3], off
	v_lshlrev_b32_e32 v2, 3, v32
	global_load_b64 v[32:33], v2, s[4:5]
	scratch_store_b32 off, v2, off offset:280 ; 4-byte Folded Spill
	s_waitcnt vmcnt(0)
	scratch_store_b64 off, v[32:33], off offset:16 ; 8-byte Folded Spill
	v_mul_f32_e32 v2, v31, v33
	v_mul_f32_e32 v3, v30, v33
	s_delay_alu instid0(VALU_DEP_2) | instskip(NEXT) | instid1(VALU_DEP_2)
	v_fmac_f32_e32 v2, v30, v32
	v_fma_f32 v3, v31, v32, -v3
	v_mad_u64_u32 v[30:31], null, 0xffffbb00, s8, v[28:29]
	s_delay_alu instid0(VALU_DEP_1)
	v_add_nc_u32_e32 v31, s16, v31
	global_load_b64 v[28:29], v[30:31], off
	global_load_b64 v[33:34], v160, s[4:5] offset:1536
	s_waitcnt vmcnt(0)
	v_mul_f32_e32 v32, v29, v34
	scratch_store_b64 off, v[33:34], off offset:8 ; 8-byte Folded Spill
	v_fmac_f32_e32 v32, v28, v33
	v_mul_f32_e32 v28, v28, v34
	s_delay_alu instid0(VALU_DEP_1)
	v_fma_f32 v33, v29, v33, -v28
	v_add_co_u32 v28, vcc_lo, v30, s11
	v_add_co_ci_u32_e32 v29, vcc_lo, s10, v31, vcc_lo
	ds_store_b64 v160, v[32:33] offset:1536
	global_load_b64 v[30:31], v[28:29], off
	global_load_b64 v[33:34], v160, s[4:5] offset:3840
	s_waitcnt vmcnt(0)
	v_mul_f32_e32 v32, v31, v34
	scratch_store_b64 off, v[33:34], off    ; 8-byte Folded Spill
	v_fmac_f32_e32 v32, v30, v33
	v_mul_f32_e32 v30, v30, v34
	s_delay_alu instid0(VALU_DEP_1) | instskip(SKIP_2) | instid1(VALU_DEP_1)
	v_fma_f32 v33, v31, v33, -v30
	ds_store_2addr_b64 v140, v[26:27], v[32:33] offset0:128 offset1:224
	v_or_b32_e32 v32, 0x300, v35
	v_mad_u64_u32 v[26:27], null, s8, v32, 0
	v_mov_b32_e32 v197, v32
	s_delay_alu instid0(VALU_DEP_2) | instskip(NEXT) | instid1(VALU_DEP_1)
	v_mad_u64_u32 v[30:31], null, s9, v32, v[27:28]
	v_dual_mov_b32 v27, v30 :: v_dual_lshlrev_b32 v30, 3, v32
	s_delay_alu instid0(VALU_DEP_1)
	v_lshlrev_b64 v[26:27], 3, v[26:27]
	global_load_b64 v[31:32], v30, s[4:5]
	scratch_store_b32 off, v30, off offset:296 ; 4-byte Folded Spill
	v_add_co_u32 v26, vcc_lo, v24, v26
	v_add_co_ci_u32_e32 v27, vcc_lo, v25, v27, vcc_lo
	global_load_b64 v[26:27], v[26:27], off
	s_waitcnt vmcnt(1)
	scratch_store_b64 off, v[31:32], off offset:100 ; 8-byte Folded Spill
	s_waitcnt vmcnt(0)
	v_mul_f32_e32 v30, v27, v32
	s_delay_alu instid0(VALU_DEP_1) | instskip(SKIP_1) | instid1(VALU_DEP_1)
	v_fmac_f32_e32 v30, v26, v31
	v_mul_f32_e32 v26, v26, v32
	v_fma_f32 v31, v27, v31, -v26
	ds_store_2addr_b64 v200, v[20:21], v[30:31] offset0:32 offset1:128
	v_add_co_u32 v20, vcc_lo, v28, s15
	v_add_co_ci_u32_e32 v21, vcc_lo, s14, v29, vcc_lo
	global_load_b64 v[26:27], v[20:21], off
	global_load_b64 v[29:30], v[4:5], off offset:256
	s_waitcnt vmcnt(0)
	v_mul_f32_e32 v28, v27, v30
	scratch_store_b64 off, v[29:30], off offset:80 ; 8-byte Folded Spill
	v_fmac_f32_e32 v28, v26, v29
	v_mul_f32_e32 v26, v26, v30
	s_delay_alu instid0(VALU_DEP_1)
	v_fma_f32 v29, v27, v29, -v26
	v_add_nc_u32_e32 v26, 0x1c00, v160
	ds_store_2addr_b64 v26, v[18:19], v[28:29] offset0:64 offset1:160
	v_add_co_u32 v18, vcc_lo, v20, s11
	v_add_co_ci_u32_e32 v19, vcc_lo, s10, v21, vcc_lo
	v_mov_b32_e32 v199, v26
	global_load_b64 v[20:21], v[18:19], off
	global_load_b64 v[26:27], v[4:5], off offset:2560
	s_waitcnt vmcnt(0)
	v_mul_f32_e32 v4, v21, v27
	v_mul_f32_e32 v5, v20, v27
	scratch_store_b64 off, v[26:27], off offset:64 ; 8-byte Folded Spill
	v_fmac_f32_e32 v4, v20, v26
	v_fma_f32 v5, v21, v26, -v5
	v_add_nc_u32_e32 v20, 0x2400, v160
	ds_store_2addr_b64 v20, v[16:17], v[4:5] offset0:96 offset1:192
	v_add_co_u32 v4, vcc_lo, v18, s11
	v_add_co_ci_u32_e32 v5, vcc_lo, s10, v19, vcc_lo
	global_load_b64 v[16:17], v[4:5], off
	global_load_b64 v[18:19], v[6:7], off offset:768
	s_waitcnt vmcnt(0)
	v_mul_f32_e32 v6, v17, v19
	v_mul_f32_e32 v7, v16, v19
	scratch_store_b64 off, v[18:19], off offset:32 ; 8-byte Folded Spill
	v_fmac_f32_e32 v6, v16, v18
	v_fma_f32 v7, v17, v18, -v7
	v_or_b32_e32 v16, 0x780, v159
	ds_store_2addr_b64 v215, v[22:23], v[6:7] offset1:96
	v_mad_u64_u32 v[6:7], null, s8, v16, 0
	v_dual_mov_b32 v18, v16 :: v_dual_add_nc_u32 v215, 0x400, v160
	s_mul_i32 s8, s1, 0xffffb200
	s_delay_alu instid0(SALU_CYCLE_1) | instskip(NEXT) | instid1(VALU_DEP_1)
	s_sub_i32 s8, s8, s0
	v_mad_u64_u32 v[16:17], null, s9, v18, v[7:8]
	s_delay_alu instid0(VALU_DEP_1)
	v_dual_mov_b32 v7, v16 :: v_dual_lshlrev_b32 v16, 3, v18
	scratch_store_b32 off, v18, off offset:88 ; 4-byte Folded Spill
	v_lshlrev_b64 v[6:7], 3, v[6:7]
	scratch_store_b32 off, v16, off offset:304 ; 4-byte Folded Spill
	global_load_b64 v[17:18], v16, s[4:5]
	s_mul_hi_u32 s5, s0, 0x900
	v_add_co_u32 v6, vcc_lo, v24, v6
	v_add_co_ci_u32_e32 v7, vcc_lo, v25, v7, vcc_lo
	v_add_co_u32 v4, vcc_lo, v4, s15
	v_add_co_ci_u32_e32 v5, vcc_lo, s14, v5, vcc_lo
	global_load_b64 v[6:7], v[6:7], off
	s_waitcnt vmcnt(1)
	scratch_store_b64 off, v[17:18], off offset:92 ; 8-byte Folded Spill
	s_waitcnt vmcnt(0)
	v_mul_f32_e32 v16, v7, v18
	s_delay_alu instid0(VALU_DEP_1) | instskip(SKIP_1) | instid1(VALU_DEP_1)
	v_fmac_f32_e32 v16, v6, v17
	v_mul_f32_e32 v6, v6, v18
	v_fma_f32 v17, v7, v17, -v6
	v_add_nc_u32_e32 v6, 0x3800, v160
	ds_store_2addr_b64 v6, v[14:15], v[16:17] offset0:32 offset1:128
	v_mov_b32_e32 v213, v6
	global_load_b64 v[6:7], v[4:5], off
	global_load_b64 v[15:16], v[8:9], off offset:1280
	v_add_co_u32 v4, vcc_lo, v4, s11
	v_add_co_ci_u32_e32 v5, vcc_lo, s10, v5, vcc_lo
	s_waitcnt vmcnt(0)
	v_mul_f32_e32 v14, v7, v16
	scratch_store_b64 off, v[15:16], off offset:144 ; 8-byte Folded Spill
	v_fmac_f32_e32 v14, v6, v15
	v_mul_f32_e32 v6, v6, v16
	s_delay_alu instid0(VALU_DEP_1)
	v_fma_f32 v15, v7, v15, -v6
	v_add_nc_u32_e32 v6, 0x4000, v160
	ds_store_2addr_b64 v6, v[12:13], v[14:15] offset0:64 offset1:160
	v_mov_b32_e32 v206, v6
	global_load_b64 v[6:7], v[4:5], off
	global_load_b64 v[12:13], v[8:9], off offset:3584
	v_add_co_u32 v4, vcc_lo, v4, s11
	v_add_co_ci_u32_e32 v5, vcc_lo, s10, v5, vcc_lo
	v_cmp_gt_u16_e64 vcc_lo, 60, v145
	s_waitcnt vmcnt(0)
	v_mul_f32_e32 v8, v7, v13
	scratch_store_b64 off, v[12:13], off offset:40 ; 8-byte Folded Spill
	v_fmac_f32_e32 v8, v6, v12
	v_mul_f32_e32 v6, v6, v13
	s_delay_alu instid0(VALU_DEP_1)
	v_fma_f32 v9, v7, v12, -v6
	v_add_nc_u32_e32 v6, 0x4800, v160
	ds_store_2addr_b64 v6, v[10:11], v[8:9] offset0:96 offset1:192
	v_mov_b32_e32 v214, v6
	global_load_b64 v[4:5], v[4:5], off
	global_load_b64 v[6:7], v[0:1], off offset:1792
	s_waitcnt vmcnt(0)
	v_mul_f32_e32 v0, v5, v7
	v_mul_f32_e32 v1, v4, v7
	scratch_store_b64 off, v[6:7], off offset:48 ; 8-byte Folded Spill
	v_fmac_f32_e32 v0, v4, v6
	v_fma_f32 v1, v5, v6, -v1
	v_add_nc_u32_e32 v4, 0x2000, v160
	ds_store_2addr_b64 v141, v[2:3], v[0:1] offset0:128 offset1:224
	s_waitcnt lgkmcnt(0)
	s_waitcnt_vscnt null, 0x0
	s_barrier
	buffer_gl0_inv
	ds_load_2addr_b64 v[67:70], v160 offset1:96
	ds_load_2addr_b64 v[75:78], v144 offset0:64 offset1:160
	ds_load_2addr_b64 v[79:82], v4 offset0:128 offset1:224
	v_dual_mov_b32 v201, v4 :: v_dual_add_nc_u32 v4, 0x2800, v160
	ds_load_2addr_b64 v[0:3], v215 offset0:64 offset1:160
	ds_load_2addr_b64 v[52:55], v143 offset1:96
	ds_load_2addr_b64 v[56:59], v4 offset0:64 offset1:160
	ds_load_2addr_b64 v[60:63], v142 offset0:64 offset1:160
	;; [unrolled: 1-line block ×3, first 2 shown]
	ds_load_2addr_b64 v[71:74], v214 offset1:96
	v_mov_b32_e32 v146, v4
	v_add_nc_u32_e32 v4, 0x4c00, v160
	ds_load_2addr_b64 v[48:51], v4 offset0:64 offset1:160
	s_waitcnt lgkmcnt(8)
	v_add_f32_e32 v24, v67, v75
	s_waitcnt lgkmcnt(7)
	v_sub_f32_e32 v29, v75, v79
	v_sub_f32_e32 v31, v79, v75
	s_delay_alu instid0(VALU_DEP_3)
	v_add_f32_e32 v24, v24, v79
	s_waitcnt lgkmcnt(2)
	v_dual_sub_f32 v25, v80, v61 :: v_dual_sub_f32 v36, v59, v47
	s_waitcnt lgkmcnt(1)
	v_sub_f32_e32 v30, v71, v60
	v_add_f32_e32 v24, v24, v60
	v_sub_f32_e32 v32, v60, v71
	v_dual_sub_f32 v34, v72, v61 :: v_dual_sub_f32 v37, v54, v58
	s_delay_alu instid0(VALU_DEP_3) | instskip(SKIP_1) | instid1(VALU_DEP_4)
	v_dual_add_f32 v29, v29, v30 :: v_dual_add_f32 v26, v24, v71
	v_add_f32_e32 v24, v79, v60
	v_add_f32_e32 v31, v31, v32
	v_sub_f32_e32 v32, v76, v80
	s_waitcnt lgkmcnt(0)
	v_sub_f32_e32 v38, v50, v46
	v_sub_f32_e32 v39, v46, v50
	v_fma_f32 v27, -0.5, v24, v67
	v_sub_f32_e32 v24, v76, v72
	v_add_f32_e32 v32, v32, v34
	v_sub_f32_e32 v34, v61, v72
	v_add_f32_e32 v37, v37, v38
	v_sub_f32_e32 v38, v58, v54
	v_fmamk_f32 v28, v24, 0x3f737871, v27
	v_dual_fmac_f32 v27, 0xbf737871, v24 :: v_dual_sub_f32 v40, v51, v47
	s_delay_alu instid0(VALU_DEP_3) | instskip(NEXT) | instid1(VALU_DEP_3)
	v_add_f32_e32 v38, v38, v39
	v_fmac_f32_e32 v28, 0x3f167918, v25
	s_delay_alu instid0(VALU_DEP_3) | instskip(NEXT) | instid1(VALU_DEP_2)
	v_fmac_f32_e32 v27, 0xbf167918, v25
	v_fmac_f32_e32 v28, 0x3e9e377a, v29
	s_delay_alu instid0(VALU_DEP_2) | instskip(SKIP_1) | instid1(VALU_DEP_1)
	v_fmac_f32_e32 v27, 0x3e9e377a, v29
	v_add_f32_e32 v29, v75, v71
	v_fma_f32 v29, -0.5, v29, v67
	s_delay_alu instid0(VALU_DEP_1) | instskip(SKIP_2) | instid1(VALU_DEP_3)
	v_fmamk_f32 v30, v25, 0xbf737871, v29
	v_fmac_f32_e32 v29, 0x3f737871, v25
	v_sub_f32_e32 v25, v79, v60
	v_fmac_f32_e32 v30, 0x3f167918, v24
	s_delay_alu instid0(VALU_DEP_3) | instskip(SKIP_1) | instid1(VALU_DEP_3)
	v_fmac_f32_e32 v29, 0xbf167918, v24
	v_add_f32_e32 v24, v68, v76
	v_fmac_f32_e32 v30, 0x3e9e377a, v31
	s_delay_alu instid0(VALU_DEP_2) | instskip(NEXT) | instid1(VALU_DEP_1)
	v_dual_fmac_f32 v29, 0x3e9e377a, v31 :: v_dual_add_f32 v24, v24, v80
	v_add_f32_e32 v24, v24, v61
	s_delay_alu instid0(VALU_DEP_1) | instskip(SKIP_1) | instid1(VALU_DEP_1)
	v_add_f32_e32 v31, v24, v72
	v_add_f32_e32 v24, v80, v61
	v_fma_f32 v64, -0.5, v24, v68
	v_sub_f32_e32 v24, v75, v71
	s_delay_alu instid0(VALU_DEP_1) | instskip(SKIP_1) | instid1(VALU_DEP_2)
	v_fmamk_f32 v33, v24, 0xbf737871, v64
	v_fmac_f32_e32 v64, 0x3f737871, v24
	v_fmac_f32_e32 v33, 0xbf167918, v25
	s_delay_alu instid0(VALU_DEP_2) | instskip(NEXT) | instid1(VALU_DEP_2)
	v_fmac_f32_e32 v64, 0x3f167918, v25
	v_fmac_f32_e32 v33, 0x3e9e377a, v32
	s_delay_alu instid0(VALU_DEP_2) | instskip(SKIP_2) | instid1(VALU_DEP_2)
	v_fmac_f32_e32 v64, 0x3e9e377a, v32
	v_add_f32_e32 v32, v76, v72
	v_add_nc_u32_e32 v154, 0x540, v35
	v_fma_f32 v60, -0.5, v32, v68
	s_delay_alu instid0(VALU_DEP_1) | instskip(SKIP_1) | instid1(VALU_DEP_2)
	v_dual_sub_f32 v32, v80, v76 :: v_dual_fmamk_f32 v35, v25, 0x3f737871, v60
	v_fmac_f32_e32 v60, 0xbf737871, v25
	v_dual_add_f32 v32, v32, v34 :: v_dual_fmac_f32 v35, 0xbf167918, v24
	s_delay_alu instid0(VALU_DEP_2) | instskip(NEXT) | instid1(VALU_DEP_2)
	v_fmac_f32_e32 v60, 0x3f167918, v24
	v_dual_add_f32 v24, v2, v54 :: v_dual_fmac_f32 v35, 0x3e9e377a, v32
	s_delay_alu instid0(VALU_DEP_2) | instskip(NEXT) | instid1(VALU_DEP_2)
	v_fmac_f32_e32 v60, 0x3e9e377a, v32
	v_add_f32_e32 v24, v24, v58
	s_delay_alu instid0(VALU_DEP_1) | instskip(NEXT) | instid1(VALU_DEP_1)
	v_add_f32_e32 v24, v24, v46
	v_add_f32_e32 v32, v24, v50
	;; [unrolled: 1-line block ×3, first 2 shown]
	s_delay_alu instid0(VALU_DEP_1) | instskip(SKIP_1) | instid1(VALU_DEP_1)
	v_fma_f32 v25, -0.5, v24, v2
	v_sub_f32_e32 v24, v55, v51
	v_fmamk_f32 v34, v24, 0x3f737871, v25
	v_fmac_f32_e32 v25, 0xbf737871, v24
	s_delay_alu instid0(VALU_DEP_2) | instskip(NEXT) | instid1(VALU_DEP_2)
	v_fmac_f32_e32 v34, 0x3f167918, v36
	v_fmac_f32_e32 v25, 0xbf167918, v36
	s_delay_alu instid0(VALU_DEP_2) | instskip(NEXT) | instid1(VALU_DEP_2)
	v_fmac_f32_e32 v34, 0x3e9e377a, v37
	v_fmac_f32_e32 v25, 0x3e9e377a, v37
	v_add_f32_e32 v37, v54, v50
	s_delay_alu instid0(VALU_DEP_1) | instskip(NEXT) | instid1(VALU_DEP_1)
	v_fma_f32 v2, -0.5, v37, v2
	v_fmamk_f32 v37, v36, 0xbf737871, v2
	v_fmac_f32_e32 v2, 0x3f737871, v36
	s_delay_alu instid0(VALU_DEP_2) | instskip(NEXT) | instid1(VALU_DEP_2)
	v_dual_sub_f32 v36, v58, v46 :: v_dual_fmac_f32 v37, 0x3f167918, v24
	v_fmac_f32_e32 v2, 0xbf167918, v24
	s_delay_alu instid0(VALU_DEP_2) | instskip(NEXT) | instid1(VALU_DEP_2)
	v_dual_add_f32 v24, v3, v55 :: v_dual_fmac_f32 v37, 0x3e9e377a, v38
	v_fmac_f32_e32 v2, 0x3e9e377a, v38
	s_delay_alu instid0(VALU_DEP_2) | instskip(SKIP_1) | instid1(VALU_DEP_4)
	v_add_f32_e32 v24, v24, v59
	v_sub_f32_e32 v38, v55, v59
	v_mul_f32_e32 v58, 0xbf737871, v37
	s_delay_alu instid0(VALU_DEP_3) | instskip(NEXT) | instid1(VALU_DEP_3)
	v_add_f32_e32 v24, v24, v47
	v_add_f32_e32 v38, v38, v40
	v_sub_f32_e32 v40, v47, v51
	s_delay_alu instid0(VALU_DEP_3) | instskip(SKIP_1) | instid1(VALU_DEP_2)
	v_add_f32_e32 v61, v24, v51
	v_dual_add_f32 v24, v59, v47 :: v_dual_mul_f32 v47, 0x3f4f1bbd, v34
	v_add_f32_e32 v41, v31, v61
	s_delay_alu instid0(VALU_DEP_2) | instskip(SKIP_2) | instid1(VALU_DEP_2)
	v_fma_f32 v65, -0.5, v24, v3
	v_sub_f32_e32 v24, v54, v50
	v_mul_f32_e32 v54, 0xbf4f1bbd, v25
	v_fmamk_f32 v39, v24, 0xbf737871, v65
	v_fmac_f32_e32 v65, 0x3f737871, v24
	s_delay_alu instid0(VALU_DEP_2) | instskip(NEXT) | instid1(VALU_DEP_2)
	v_fmac_f32_e32 v39, 0xbf167918, v36
	v_fmac_f32_e32 v65, 0x3f167918, v36
	s_delay_alu instid0(VALU_DEP_2) | instskip(NEXT) | instid1(VALU_DEP_2)
	v_fmac_f32_e32 v39, 0x3e9e377a, v38
	v_dual_fmac_f32 v65, 0x3e9e377a, v38 :: v_dual_add_f32 v38, v55, v51
	v_mul_f32_e32 v51, 0xbe9e377a, v2
	s_delay_alu instid0(VALU_DEP_2) | instskip(NEXT) | instid1(VALU_DEP_3)
	v_dual_fmac_f32 v47, 0x3f167918, v39 :: v_dual_fmac_f32 v54, 0x3f167918, v65
	v_fma_f32 v3, -0.5, v38, v3
	v_dual_sub_f32 v38, v59, v55 :: v_dual_mul_f32 v55, 0xbf167918, v34
	s_delay_alu instid0(VALU_DEP_3) | instskip(NEXT) | instid1(VALU_DEP_3)
	v_add_f32_e32 v42, v28, v47
	v_fmamk_f32 v46, v36, 0x3f737871, v3
	v_fmac_f32_e32 v3, 0xbf737871, v36
	s_delay_alu instid0(VALU_DEP_4)
	v_add_f32_e32 v38, v38, v40
	v_add_f32_e32 v40, v26, v32
	v_sub_f32_e32 v26, v26, v32
	v_fmac_f32_e32 v46, 0xbf167918, v24
	v_dual_fmac_f32 v3, 0x3f167918, v24 :: v_dual_add_f32 v24, v27, v54
	v_sub_f32_e32 v32, v28, v47
	v_fmac_f32_e32 v55, 0x3f4f1bbd, v39
	s_delay_alu instid0(VALU_DEP_4) | instskip(NEXT) | instid1(VALU_DEP_4)
	v_fmac_f32_e32 v46, 0x3e9e377a, v38
	v_fmac_f32_e32 v3, 0x3e9e377a, v38
	s_delay_alu instid0(VALU_DEP_2) | instskip(NEXT) | instid1(VALU_DEP_2)
	v_dual_add_f32 v43, v33, v55 :: v_dual_mul_f32 v50, 0x3f737871, v46
	v_fmac_f32_e32 v51, 0x3f737871, v3
	v_mul_f32_e32 v3, 0xbe9e377a, v3
	v_dual_fmac_f32 v58, 0x3e9e377a, v46 :: v_dual_sub_f32 v33, v33, v55
	s_delay_alu instid0(VALU_DEP_4) | instskip(NEXT) | instid1(VALU_DEP_3)
	v_fmac_f32_e32 v50, 0x3e9e377a, v37
	v_dual_add_f32 v38, v29, v51 :: v_dual_fmac_f32 v3, 0xbf737871, v2
	v_mul_f32_e32 v2, 0xbf4f1bbd, v65
	v_sub_f32_e32 v28, v29, v51
	s_delay_alu instid0(VALU_DEP_4)
	v_add_f32_e32 v36, v30, v50
	v_sub_f32_e32 v34, v30, v50
	v_sub_f32_e32 v30, v27, v54
	v_fmac_f32_e32 v2, 0xbf167918, v25
	v_sub_f32_e32 v27, v31, v61
	v_add_f32_e32 v39, v60, v3
	v_sub_f32_e32 v29, v60, v3
	v_sub_f32_e32 v3, v82, v63
	v_add_f32_e32 v25, v64, v2
	v_dual_sub_f32 v31, v64, v2 :: v_dual_add_f32 v2, v69, v77
	v_sub_f32_e32 v51, v77, v81
	v_sub_f32_e32 v54, v73, v62
	v_add_f32_e32 v37, v35, v58
	s_delay_alu instid0(VALU_DEP_4) | instskip(SKIP_1) | instid1(VALU_DEP_4)
	v_dual_sub_f32 v35, v35, v58 :: v_dual_add_f32 v2, v2, v81
	v_sub_f32_e32 v55, v81, v77
	v_dual_add_f32 v51, v51, v54 :: v_dual_sub_f32 v58, v62, v73
	v_sub_f32_e32 v60, v74, v63
	s_delay_alu instid0(VALU_DEP_4) | instskip(NEXT) | instid1(VALU_DEP_3)
	v_dual_add_f32 v2, v2, v62 :: v_dual_mov_b32 v167, v20
	v_add_f32_e32 v55, v55, v58
	v_sub_f32_e32 v58, v78, v82
	s_delay_alu instid0(VALU_DEP_3) | instskip(SKIP_1) | instid1(VALU_DEP_3)
	v_add_f32_e32 v46, v2, v73
	v_add_f32_e32 v2, v81, v62
	;; [unrolled: 1-line block ×3, first 2 shown]
	v_sub_f32_e32 v60, v63, v74
	s_delay_alu instid0(VALU_DEP_3) | instskip(SKIP_1) | instid1(VALU_DEP_1)
	v_fma_f32 v47, -0.5, v2, v69
	v_sub_f32_e32 v2, v78, v74
	v_fmamk_f32 v50, v2, 0x3f737871, v47
	v_fmac_f32_e32 v47, 0xbf737871, v2
	s_delay_alu instid0(VALU_DEP_2) | instskip(NEXT) | instid1(VALU_DEP_2)
	v_fmac_f32_e32 v50, 0x3f167918, v3
	v_fmac_f32_e32 v47, 0xbf167918, v3
	s_delay_alu instid0(VALU_DEP_2) | instskip(NEXT) | instid1(VALU_DEP_2)
	v_fmac_f32_e32 v50, 0x3e9e377a, v51
	v_fmac_f32_e32 v47, 0x3e9e377a, v51
	v_add_f32_e32 v51, v77, v73
	s_delay_alu instid0(VALU_DEP_1) | instskip(NEXT) | instid1(VALU_DEP_1)
	v_fma_f32 v51, -0.5, v51, v69
	v_fmamk_f32 v54, v3, 0xbf737871, v51
	v_fmac_f32_e32 v51, 0x3f737871, v3
	v_sub_f32_e32 v3, v81, v62
	s_delay_alu instid0(VALU_DEP_3) | instskip(NEXT) | instid1(VALU_DEP_3)
	v_fmac_f32_e32 v54, 0x3f167918, v2
	v_fmac_f32_e32 v51, 0xbf167918, v2
	v_add_f32_e32 v2, v70, v78
	s_delay_alu instid0(VALU_DEP_3) | instskip(NEXT) | instid1(VALU_DEP_2)
	v_fmac_f32_e32 v54, 0x3e9e377a, v55
	v_dual_fmac_f32 v51, 0x3e9e377a, v55 :: v_dual_add_f32 v2, v2, v82
	s_delay_alu instid0(VALU_DEP_1) | instskip(NEXT) | instid1(VALU_DEP_1)
	v_add_f32_e32 v2, v2, v63
	v_add_f32_e32 v55, v2, v74
	;; [unrolled: 1-line block ×3, first 2 shown]
	s_delay_alu instid0(VALU_DEP_1) | instskip(SKIP_1) | instid1(VALU_DEP_1)
	v_fma_f32 v61, -0.5, v2, v70
	v_sub_f32_e32 v2, v77, v73
	v_fmamk_f32 v59, v2, 0xbf737871, v61
	v_fmac_f32_e32 v61, 0x3f737871, v2
	s_delay_alu instid0(VALU_DEP_2) | instskip(NEXT) | instid1(VALU_DEP_2)
	v_fmac_f32_e32 v59, 0xbf167918, v3
	v_fmac_f32_e32 v61, 0x3f167918, v3
	s_delay_alu instid0(VALU_DEP_2) | instskip(NEXT) | instid1(VALU_DEP_2)
	v_fmac_f32_e32 v59, 0x3e9e377a, v58
	v_fmac_f32_e32 v61, 0x3e9e377a, v58
	v_add_f32_e32 v58, v78, v74
	s_delay_alu instid0(VALU_DEP_1) | instskip(NEXT) | instid1(VALU_DEP_1)
	v_fmac_f32_e32 v70, -0.5, v58
	v_dual_sub_f32 v58, v82, v78 :: v_dual_fmamk_f32 v65, v3, 0x3f737871, v70
	v_mov_b32_e32 v202, v4
	ds_load_2addr_b64 v[4:7], v140 offset0:128 offset1:224
	ds_load_2addr_b64 v[16:19], v199 offset0:64 offset1:160
	ds_load_2addr_b64 v[20:23], v205 offset1:96
	ds_load_2addr_b64 v[8:11], v206 offset0:64 offset1:160
	ds_load_2addr_b64 v[12:15], v141 offset0:128 offset1:224
	v_fmac_f32_e32 v70, 0xbf737871, v3
	v_dual_add_f32 v58, v58, v60 :: v_dual_fmac_f32 v65, 0xbf167918, v2
	s_waitcnt lgkmcnt(0)
	s_barrier
	s_delay_alu instid0(VALU_DEP_2)
	v_fmac_f32_e32 v70, 0x3f167918, v2
	buffer_gl0_inv
	v_fmac_f32_e32 v65, 0x3e9e377a, v58
	v_fmac_f32_e32 v70, 0x3e9e377a, v58
	v_add_f32_e32 v2, v4, v16
	v_dual_sub_f32 v63, v16, v20 :: v_dual_sub_f32 v62, v21, v9
	v_sub_f32_e32 v64, v12, v8
	v_sub_f32_e32 v66, v8, v12
	s_delay_alu instid0(VALU_DEP_4) | instskip(NEXT) | instid1(VALU_DEP_3)
	v_add_f32_e32 v2, v2, v20
	v_add_f32_e32 v63, v63, v64
	v_sub_f32_e32 v64, v20, v16
	s_delay_alu instid0(VALU_DEP_3) | instskip(NEXT) | instid1(VALU_DEP_2)
	v_add_f32_e32 v2, v2, v8
	v_add_f32_e32 v64, v64, v66
	s_delay_alu instid0(VALU_DEP_2) | instskip(SKIP_2) | instid1(VALU_DEP_3)
	v_add_f32_e32 v58, v2, v12
	v_add_f32_e32 v2, v20, v8
	v_sub_f32_e32 v8, v20, v8
	v_dual_sub_f32 v20, v13, v9 :: v_dual_add_f32 v71, v46, v58
	s_delay_alu instid0(VALU_DEP_3) | instskip(SKIP_1) | instid1(VALU_DEP_1)
	v_fma_f32 v3, -0.5, v2, v4
	v_sub_f32_e32 v2, v17, v13
	v_fmamk_f32 v60, v2, 0x3f737871, v3
	v_fmac_f32_e32 v3, 0xbf737871, v2
	s_delay_alu instid0(VALU_DEP_2) | instskip(NEXT) | instid1(VALU_DEP_2)
	v_fmac_f32_e32 v60, 0x3f167918, v62
	v_fmac_f32_e32 v3, 0xbf167918, v62
	s_delay_alu instid0(VALU_DEP_2) | instskip(NEXT) | instid1(VALU_DEP_2)
	v_fmac_f32_e32 v60, 0x3e9e377a, v63
	v_fmac_f32_e32 v3, 0x3e9e377a, v63
	v_add_f32_e32 v63, v16, v12
	s_delay_alu instid0(VALU_DEP_1) | instskip(NEXT) | instid1(VALU_DEP_1)
	v_fma_f32 v4, -0.5, v63, v4
	v_fmamk_f32 v63, v62, 0xbf737871, v4
	v_fmac_f32_e32 v4, 0x3f737871, v62
	s_delay_alu instid0(VALU_DEP_2) | instskip(NEXT) | instid1(VALU_DEP_2)
	v_fmac_f32_e32 v63, 0x3f167918, v2
	v_fmac_f32_e32 v4, 0xbf167918, v2
	s_delay_alu instid0(VALU_DEP_2) | instskip(NEXT) | instid1(VALU_DEP_2)
	v_dual_add_f32 v2, v5, v17 :: v_dual_fmac_f32 v63, 0x3e9e377a, v64
	v_fmac_f32_e32 v4, 0x3e9e377a, v64
	s_delay_alu instid0(VALU_DEP_2) | instskip(NEXT) | instid1(VALU_DEP_1)
	v_add_f32_e32 v2, v2, v21
	v_add_f32_e32 v2, v2, v9
	s_delay_alu instid0(VALU_DEP_1) | instskip(SKIP_1) | instid1(VALU_DEP_2)
	v_add_f32_e32 v75, v2, v13
	v_add_f32_e32 v2, v21, v9
	v_dual_sub_f32 v9, v9, v13 :: v_dual_add_f32 v72, v55, v75
	s_delay_alu instid0(VALU_DEP_2) | instskip(SKIP_2) | instid1(VALU_DEP_2)
	v_fma_f32 v62, -0.5, v2, v5
	v_sub_f32_e32 v2, v16, v12
	v_sub_f32_e32 v16, v17, v21
	v_fmamk_f32 v12, v2, 0xbf737871, v62
	v_fmac_f32_e32 v62, 0x3f737871, v2
	s_delay_alu instid0(VALU_DEP_3) | instskip(SKIP_1) | instid1(VALU_DEP_4)
	v_add_f32_e32 v16, v16, v20
	v_mul_f32_e32 v20, 0xbf167918, v60
	v_fmac_f32_e32 v12, 0xbf167918, v8
	s_delay_alu instid0(VALU_DEP_4) | instskip(NEXT) | instid1(VALU_DEP_2)
	v_fmac_f32_e32 v62, 0x3f167918, v8
	v_fmac_f32_e32 v12, 0x3e9e377a, v16
	s_delay_alu instid0(VALU_DEP_2)
	v_fmac_f32_e32 v62, 0x3e9e377a, v16
	v_add_f32_e32 v16, v17, v13
	v_sub_f32_e32 v17, v21, v17
	v_mul_f32_e32 v13, 0xbe9e377a, v4
	v_fmac_f32_e32 v20, 0x3f4f1bbd, v12
	v_mul_f32_e32 v21, 0xbf4f1bbd, v62
	v_fma_f32 v5, -0.5, v16, v5
	v_add_f32_e32 v9, v17, v9
	s_delay_alu instid0(VALU_DEP_4) | instskip(NEXT) | instid1(VALU_DEP_4)
	v_dual_mul_f32 v17, 0xbf4f1bbd, v3 :: v_dual_add_f32 v74, v59, v20
	v_fmac_f32_e32 v21, 0xbf167918, v3
	s_delay_alu instid0(VALU_DEP_4) | instskip(SKIP_3) | instid1(VALU_DEP_4)
	v_fmamk_f32 v16, v8, 0x3f737871, v5
	v_fmac_f32_e32 v5, 0xbf737871, v8
	v_mul_f32_e32 v8, 0x3f4f1bbd, v60
	v_fmac_f32_e32 v17, 0x3f167918, v62
	v_dual_add_f32 v3, v61, v21 :: v_dual_fmac_f32 v16, 0xbf167918, v2
	s_delay_alu instid0(VALU_DEP_3) | instskip(SKIP_1) | instid1(VALU_DEP_3)
	v_dual_fmac_f32 v5, 0x3f167918, v2 :: v_dual_fmac_f32 v8, 0x3f167918, v12
	v_dual_mul_f32 v12, 0xbf737871, v63 :: v_dual_sub_f32 v61, v61, v21
	v_fmac_f32_e32 v16, 0x3e9e377a, v9
	s_delay_alu instid0(VALU_DEP_3) | instskip(NEXT) | instid1(VALU_DEP_4)
	v_fmac_f32_e32 v5, 0x3e9e377a, v9
	v_add_f32_e32 v73, v50, v8
	v_sub_f32_e32 v62, v50, v8
	v_add_f32_e32 v8, v0, v52
	v_mul_f32_e32 v9, 0x3f737871, v16
	v_fmac_f32_e32 v13, 0x3f737871, v5
	v_fmac_f32_e32 v12, 0x3e9e377a, v16
	v_mul_f32_e32 v16, 0xbe9e377a, v5
	s_delay_alu instid0(VALU_DEP_4) | instskip(SKIP_1) | instid1(VALU_DEP_4)
	v_dual_add_f32 v8, v8, v56 :: v_dual_fmac_f32 v9, 0x3e9e377a, v63
	v_sub_f32_e32 v63, v59, v20
	v_dual_add_f32 v68, v51, v13 :: v_dual_add_f32 v67, v65, v12
	s_delay_alu instid0(VALU_DEP_3) | instskip(NEXT) | instid1(VALU_DEP_4)
	v_add_f32_e32 v8, v8, v44
	v_add_f32_e32 v66, v54, v9
	v_fmac_f32_e32 v16, 0xbf737871, v4
	v_sub_f32_e32 v4, v46, v58
	v_sub_f32_e32 v64, v54, v9
	v_add_f32_e32 v20, v8, v48
	v_add_f32_e32 v8, v56, v44
	v_dual_sub_f32 v58, v51, v13 :: v_dual_sub_f32 v65, v65, v12
	v_dual_sub_f32 v9, v57, v45 :: v_dual_sub_f32 v12, v52, v56
	s_delay_alu instid0(VALU_DEP_3) | instskip(SKIP_3) | instid1(VALU_DEP_3)
	v_fma_f32 v21, -0.5, v8, v0
	v_dual_sub_f32 v8, v53, v49 :: v_dual_sub_f32 v13, v48, v44
	v_add_f32_e32 v2, v47, v17
	v_dual_sub_f32 v60, v47, v17 :: v_dual_add_f32 v69, v70, v16
	v_fmamk_f32 v46, v8, 0x3f737871, v21
	s_delay_alu instid0(VALU_DEP_4) | instskip(SKIP_1) | instid1(VALU_DEP_3)
	v_dual_fmac_f32 v21, 0xbf737871, v8 :: v_dual_add_f32 v12, v12, v13
	v_sub_f32_e32 v13, v44, v48
	v_dual_sub_f32 v59, v70, v16 :: v_dual_fmac_f32 v46, 0x3f167918, v9
	s_delay_alu instid0(VALU_DEP_3) | instskip(NEXT) | instid1(VALU_DEP_2)
	v_dual_fmac_f32 v21, 0xbf167918, v9 :: v_dual_sub_f32 v16, v14, v10
	v_dual_sub_f32 v5, v55, v75 :: v_dual_fmac_f32 v46, 0x3e9e377a, v12
	s_delay_alu instid0(VALU_DEP_2) | instskip(SKIP_1) | instid1(VALU_DEP_1)
	v_fmac_f32_e32 v21, 0x3e9e377a, v12
	v_add_f32_e32 v12, v52, v48
	v_fma_f32 v0, -0.5, v12, v0
	s_delay_alu instid0(VALU_DEP_1) | instskip(SKIP_1) | instid1(VALU_DEP_2)
	v_dual_sub_f32 v12, v56, v52 :: v_dual_fmamk_f32 v47, v9, 0xbf737871, v0
	v_fmac_f32_e32 v0, 0x3f737871, v9
	v_add_f32_e32 v12, v12, v13
	v_sub_f32_e32 v9, v56, v44
	v_sub_f32_e32 v13, v49, v45
	v_fmac_f32_e32 v47, 0x3f167918, v8
	v_fmac_f32_e32 v0, 0xbf167918, v8
	s_delay_alu instid0(VALU_DEP_2) | instskip(NEXT) | instid1(VALU_DEP_2)
	v_dual_add_f32 v8, v1, v53 :: v_dual_fmac_f32 v47, 0x3e9e377a, v12
	v_fmac_f32_e32 v0, 0x3e9e377a, v12
	s_delay_alu instid0(VALU_DEP_2) | instskip(SKIP_1) | instid1(VALU_DEP_2)
	v_add_f32_e32 v8, v8, v57
	v_sub_f32_e32 v12, v53, v57
	v_add_f32_e32 v8, v8, v45
	s_delay_alu instid0(VALU_DEP_2) | instskip(SKIP_1) | instid1(VALU_DEP_3)
	v_add_f32_e32 v12, v12, v13
	v_sub_f32_e32 v13, v45, v49
	v_add_f32_e32 v50, v8, v49
	v_add_f32_e32 v8, v57, v45
	s_delay_alu instid0(VALU_DEP_1) | instskip(SKIP_1) | instid1(VALU_DEP_1)
	v_fma_f32 v51, -0.5, v8, v1
	v_sub_f32_e32 v8, v52, v48
	v_fmamk_f32 v48, v8, 0xbf737871, v51
	v_fmac_f32_e32 v51, 0x3f737871, v8
	s_delay_alu instid0(VALU_DEP_2) | instskip(NEXT) | instid1(VALU_DEP_2)
	v_fmac_f32_e32 v48, 0xbf167918, v9
	v_fmac_f32_e32 v51, 0x3f167918, v9
	s_delay_alu instid0(VALU_DEP_2) | instskip(NEXT) | instid1(VALU_DEP_2)
	v_fmac_f32_e32 v48, 0x3e9e377a, v12
	v_dual_fmac_f32 v51, 0x3e9e377a, v12 :: v_dual_add_f32 v12, v53, v49
	s_delay_alu instid0(VALU_DEP_1) | instskip(NEXT) | instid1(VALU_DEP_1)
	v_dual_fmac_f32 v1, -0.5, v12 :: v_dual_sub_f32 v12, v57, v53
	v_fmamk_f32 v52, v9, 0x3f737871, v1
	v_fmac_f32_e32 v1, 0xbf737871, v9
	s_delay_alu instid0(VALU_DEP_3) | instskip(NEXT) | instid1(VALU_DEP_3)
	v_dual_add_f32 v12, v12, v13 :: v_dual_sub_f32 v9, v23, v11
	v_fmac_f32_e32 v52, 0xbf167918, v8
	s_delay_alu instid0(VALU_DEP_3) | instskip(NEXT) | instid1(VALU_DEP_2)
	v_dual_fmac_f32 v1, 0x3f167918, v8 :: v_dual_add_f32 v8, v6, v18
	v_fmac_f32_e32 v52, 0x3e9e377a, v12
	s_delay_alu instid0(VALU_DEP_2) | instskip(SKIP_1) | instid1(VALU_DEP_2)
	v_dual_fmac_f32 v1, 0x3e9e377a, v12 :: v_dual_add_f32 v8, v8, v22
	v_sub_f32_e32 v12, v18, v22
	v_add_f32_e32 v8, v8, v10
	s_delay_alu instid0(VALU_DEP_2) | instskip(SKIP_1) | instid1(VALU_DEP_3)
	v_add_f32_e32 v12, v12, v16
	v_sub_f32_e32 v16, v10, v14
	v_add_f32_e32 v44, v8, v14
	v_add_f32_e32 v8, v22, v10
	s_delay_alu instid0(VALU_DEP_1) | instskip(SKIP_1) | instid1(VALU_DEP_1)
	v_fma_f32 v17, -0.5, v8, v6
	v_sub_f32_e32 v8, v19, v15
	v_fmamk_f32 v13, v8, 0x3f737871, v17
	v_fmac_f32_e32 v17, 0xbf737871, v8
	s_delay_alu instid0(VALU_DEP_2) | instskip(NEXT) | instid1(VALU_DEP_2)
	v_fmac_f32_e32 v13, 0x3f167918, v9
	v_fmac_f32_e32 v17, 0xbf167918, v9
	s_delay_alu instid0(VALU_DEP_2) | instskip(NEXT) | instid1(VALU_DEP_2)
	v_fmac_f32_e32 v13, 0x3e9e377a, v12
	v_dual_fmac_f32 v17, 0x3e9e377a, v12 :: v_dual_add_f32 v12, v18, v14
	s_delay_alu instid0(VALU_DEP_2) | instskip(NEXT) | instid1(VALU_DEP_2)
	v_mul_f32_e32 v56, 0xbf167918, v13
	v_mul_f32_e32 v55, 0xbf4f1bbd, v17
	s_delay_alu instid0(VALU_DEP_3) | instskip(NEXT) | instid1(VALU_DEP_1)
	v_fma_f32 v6, -0.5, v12, v6
	v_dual_sub_f32 v12, v22, v18 :: v_dual_fmamk_f32 v45, v9, 0xbf737871, v6
	v_fmac_f32_e32 v6, 0x3f737871, v9
	s_delay_alu instid0(VALU_DEP_2) | instskip(NEXT) | instid1(VALU_DEP_3)
	v_dual_add_f32 v12, v12, v16 :: v_dual_sub_f32 v9, v22, v10
	v_dual_sub_f32 v10, v19, v23 :: v_dual_fmac_f32 v45, 0x3f167918, v8
	s_delay_alu instid0(VALU_DEP_3) | instskip(NEXT) | instid1(VALU_DEP_2)
	v_fmac_f32_e32 v6, 0xbf167918, v8
	v_dual_add_f32 v8, v7, v19 :: v_dual_fmac_f32 v45, 0x3e9e377a, v12
	s_delay_alu instid0(VALU_DEP_2) | instskip(NEXT) | instid1(VALU_DEP_2)
	v_fmac_f32_e32 v6, 0x3e9e377a, v12
	v_add_f32_e32 v8, v8, v23
	v_sub_f32_e32 v12, v15, v11
	s_delay_alu instid0(VALU_DEP_3) | instskip(NEXT) | instid1(VALU_DEP_3)
	v_mul_f32_e32 v54, 0xbe9e377a, v6
	v_add_f32_e32 v8, v8, v11
	s_delay_alu instid0(VALU_DEP_1) | instskip(SKIP_2) | instid1(VALU_DEP_2)
	v_dual_add_f32 v10, v10, v12 :: v_dual_add_f32 v49, v8, v15
	v_add_f32_e32 v8, v23, v11
	v_sub_f32_e32 v11, v11, v15
	v_fma_f32 v53, -0.5, v8, v7
	v_sub_f32_e32 v8, v18, v14
	s_delay_alu instid0(VALU_DEP_1) | instskip(SKIP_1) | instid1(VALU_DEP_2)
	v_fmamk_f32 v18, v8, 0xbf737871, v53
	v_fmac_f32_e32 v53, 0x3f737871, v8
	v_fmac_f32_e32 v18, 0xbf167918, v9
	s_delay_alu instid0(VALU_DEP_2) | instskip(NEXT) | instid1(VALU_DEP_2)
	v_fmac_f32_e32 v53, 0x3f167918, v9
	v_fmac_f32_e32 v18, 0x3e9e377a, v10
	s_delay_alu instid0(VALU_DEP_2) | instskip(NEXT) | instid1(VALU_DEP_2)
	v_dual_fmac_f32 v53, 0x3e9e377a, v10 :: v_dual_add_f32 v10, v19, v15
	v_fmac_f32_e32 v56, 0x3f4f1bbd, v18
	s_delay_alu instid0(VALU_DEP_2) | instskip(NEXT) | instid1(VALU_DEP_3)
	v_fmac_f32_e32 v55, 0x3f167918, v53
	v_dual_fmac_f32 v7, -0.5, v10 :: v_dual_sub_f32 v10, v23, v19
	s_delay_alu instid0(VALU_DEP_2) | instskip(NEXT) | instid1(VALU_DEP_2)
	v_dual_mul_f32 v19, 0x3f4f1bbd, v13 :: v_dual_add_f32 v16, v21, v55
	v_fmamk_f32 v22, v9, 0x3f737871, v7
	s_delay_alu instid0(VALU_DEP_3) | instskip(NEXT) | instid1(VALU_DEP_3)
	v_dual_fmac_f32 v7, 0xbf737871, v9 :: v_dual_add_f32 v10, v10, v11
	v_dual_fmac_f32 v19, 0x3f167918, v18 :: v_dual_sub_f32 v18, v20, v44
	s_delay_alu instid0(VALU_DEP_3) | instskip(NEXT) | instid1(VALU_DEP_3)
	v_fmac_f32_e32 v22, 0xbf167918, v8
	v_fmac_f32_e32 v7, 0x3f167918, v8
	v_dual_add_f32 v8, v20, v44 :: v_dual_add_f32 v9, v50, v49
	s_delay_alu instid0(VALU_DEP_3) | instskip(NEXT) | instid1(VALU_DEP_3)
	v_dual_add_f32 v11, v48, v56 :: v_dual_fmac_f32 v22, 0x3e9e377a, v10
	v_dual_fmac_f32 v7, 0x3e9e377a, v10 :: v_dual_add_f32 v10, v46, v19
	v_sub_f32_e32 v20, v46, v19
	v_sub_f32_e32 v19, v50, v49
	s_delay_alu instid0(VALU_DEP_3) | instskip(SKIP_2) | instid1(VALU_DEP_3)
	v_dual_mul_f32 v23, 0x3f737871, v22 :: v_dual_fmac_f32 v54, 0x3f737871, v7
	v_mul_f32_e32 v7, 0xbe9e377a, v7
	v_dual_sub_f32 v46, v21, v55 :: v_dual_sub_f32 v21, v48, v56
	v_dual_fmac_f32 v23, 0x3e9e377a, v45 :: v_dual_add_f32 v14, v0, v54
	v_sub_f32_e32 v44, v0, v54
	v_mul_lo_u16 v0, v145, 10
	v_mul_f32_e32 v45, 0xbf737871, v45
	v_fmac_f32_e32 v7, 0xbf737871, v6
	v_mul_f32_e32 v6, 0xbf4f1bbd, v53
	v_add_f32_e32 v12, v47, v23
	v_and_b32_e32 v0, 0xffff, v0
	v_fmac_f32_e32 v45, 0x3e9e377a, v22
	s_delay_alu instid0(VALU_DEP_4) | instskip(SKIP_1) | instid1(VALU_DEP_3)
	v_dual_add_f32 v15, v1, v7 :: v_dual_fmac_f32 v6, 0xbf167918, v17
	v_sub_f32_e32 v22, v47, v23
	v_dual_add_f32 v13, v52, v45 :: v_dual_lshlrev_b32 v0, 3, v0
	v_sub_f32_e32 v23, v52, v45
	s_delay_alu instid0(VALU_DEP_4)
	v_add_f32_e32 v17, v51, v6
	v_sub_f32_e32 v45, v1, v7
	ds_store_b128 v0, v[40:43]
	scratch_store_b32 off, v0, off offset:492 ; 4-byte Folded Spill
	ds_store_b128 v0, v[36:39] offset:16
	ds_store_b128 v0, v[24:27] offset:32
	;; [unrolled: 1-line block ×4, first 2 shown]
	v_mul_u32_u24_e32 v0, 10, v112
	s_delay_alu instid0(VALU_DEP_1)
	v_dual_sub_f32 v47, v51, v6 :: v_dual_lshlrev_b32 v0, 3, v0
	ds_store_b128 v0, v[71:74]
	scratch_store_b32 off, v0, off offset:440 ; 4-byte Folded Spill
	ds_store_b128 v0, v[66:69] offset:16
	ds_store_b128 v0, v[2:5] offset:32
	ds_store_b128 v0, v[62:65] offset:48
	ds_store_b128 v0, v[58:61] offset:64
	v_mul_u32_u24_e32 v0, 10, v113
	s_delay_alu instid0(VALU_DEP_1)
	v_lshlrev_b32_e32 v0, 3, v0
	ds_store_b128 v0, v[8:11]
	v_and_b32_e32 v8, 0xff, v145
	scratch_store_b32 off, v0, off offset:312 ; 4-byte Folded Spill
	ds_store_b128 v0, v[12:15] offset:16
	ds_store_b128 v0, v[16:19] offset:32
	;; [unrolled: 1-line block ×4, first 2 shown]
	s_waitcnt lgkmcnt(0)
	s_waitcnt_vscnt null, 0x0
	s_barrier
	v_mul_lo_u16 v8, 0xcd, v8
	buffer_gl0_inv
	ds_load_2addr_b64 v[32:35], v160 offset1:96
	ds_load_2addr_b64 v[0:3], v140 offset0:128 offset1:224
	ds_load_2addr_b64 v[16:19], v199 offset0:64 offset1:160
	;; [unrolled: 1-line block ×4, first 2 shown]
	ds_load_2addr_b64 v[48:51], v214 offset1:96
	ds_load_2addr_b64 v[36:39], v144 offset0:64 offset1:160
	ds_load_2addr_b64 v[44:47], v205 offset1:96
	ds_load_2addr_b64 v[68:71], v202 offset0:64 offset1:160
	ds_load_2addr_b64 v[4:7], v215 offset0:64 offset1:160
	;; [unrolled: 1-line block ×4, first 2 shown]
	ds_load_2addr_b64 v[64:67], v143 offset1:96
	ds_load_2addr_b64 v[52:55], v142 offset0:64 offset1:160
	ds_load_2addr_b64 v[40:43], v141 offset0:128 offset1:224
	v_lshrrev_b16 v100, 11, v8
	s_delay_alu instid0(VALU_DEP_1) | instskip(SKIP_1) | instid1(VALU_DEP_2)
	v_mul_lo_u16 v8, v100, 10
	v_and_b32_e32 v100, 0xffff, v100
	v_sub_nc_u16 v8, v145, v8
	s_delay_alu instid0(VALU_DEP_2) | instskip(NEXT) | instid1(VALU_DEP_2)
	v_mul_u32_u24_e32 v100, 60, v100
	v_and_b32_e32 v101, 0xff, v8
	s_delay_alu instid0(VALU_DEP_1)
	v_mad_u64_u32 v[12:13], null, v101, 40, s[6:7]
	s_clause 0x2
	global_load_b64 v[25:26], v[12:13], off offset:32
	global_load_b128 v[8:11], v[12:13], off offset:16
	global_load_b128 v[12:15], v[12:13], off
	v_add_lshl_u32 v100, v100, v101, 3
	s_waitcnt vmcnt(2)
	scratch_store_b64 off, v[25:26], off offset:336 ; 8-byte Folded Spill
	s_waitcnt vmcnt(1) lgkmcnt(11)
	v_mul_f32_e32 v73, v62, v9
	s_waitcnt vmcnt(0)
	v_dual_mul_f32 v24, v3, v13 :: v_dual_mul_f32 v81, v16, v15
	s_waitcnt lgkmcnt(10)
	s_delay_alu instid0(VALU_DEP_2) | instskip(NEXT) | instid1(VALU_DEP_2)
	v_dual_mul_f32 v84, v20, v11 :: v_dual_fmac_f32 v73, v63, v8
	v_fma_f32 v72, v2, v12, -v24
	s_delay_alu instid0(VALU_DEP_3) | instskip(NEXT) | instid1(VALU_DEP_3)
	v_dual_mul_f32 v2, v2, v13 :: v_dual_fmac_f32 v81, v17, v14
	v_fmac_f32_e32 v84, v21, v10
	s_delay_alu instid0(VALU_DEP_2) | instskip(NEXT) | instid1(VALU_DEP_1)
	v_dual_fmac_f32 v2, v3, v12 :: v_dual_mul_f32 v3, v17, v15
	v_fma_f32 v78, v16, v14, -v3
	v_dual_mul_f32 v16, v21, v11 :: v_dual_mul_f32 v3, v63, v9
	s_waitcnt lgkmcnt(9)
	v_mul_f32_e32 v63, v50, v26
	s_delay_alu instid0(VALU_DEP_2) | instskip(SKIP_2) | instid1(VALU_DEP_4)
	v_fma_f32 v82, v20, v10, -v16
	v_mul_f32_e32 v16, v51, v26
	v_fma_f32 v3, v62, v8, -v3
	v_fmac_f32_e32 v63, v51, v25
	s_delay_alu instid0(VALU_DEP_3) | instskip(SKIP_1) | instid1(VALU_DEP_1)
	v_fma_f32 v62, v50, v25, -v16
	v_mul_lo_u16 v16, 0xcd, v114
	v_lshrrev_b16 v102, 11, v16
	s_delay_alu instid0(VALU_DEP_1) | instskip(NEXT) | instid1(VALU_DEP_1)
	v_mul_lo_u16 v16, v102, 10
	v_sub_nc_u16 v16, v112, v16
	s_delay_alu instid0(VALU_DEP_1) | instskip(NEXT) | instid1(VALU_DEP_1)
	v_and_b32_e32 v103, 0xff, v16
	v_mad_u64_u32 v[16:17], null, v103, 40, s[6:7]
	s_clause 0x2
	global_load_b64 v[20:21], v[16:17], off offset:32
	global_load_b128 v[24:27], v[16:17], off offset:16
	global_load_b128 v[28:31], v[16:17], off
	s_waitcnt vmcnt(2) lgkmcnt(6)
	v_mul_f32_e32 v80, v68, v21
	scratch_store_b64 off, v[20:21], off offset:328 ; 8-byte Folded Spill
	s_waitcnt vmcnt(0)
	v_dual_mul_f32 v16, v37, v29 :: v_dual_mul_f32 v77, v18, v31
	v_dual_mul_f32 v75, v44, v25 :: v_dual_fmac_f32 v80, v69, v20
	v_mul_f32_e32 v85, v22, v27
	s_delay_alu instid0(VALU_DEP_3)
	v_fma_f32 v50, v36, v28, -v16
	v_mul_f32_e32 v16, v19, v31
	v_fmac_f32_e32 v77, v19, v30
	v_fmac_f32_e32 v75, v45, v24
	;; [unrolled: 1-line block ×3, first 2 shown]
	v_mul_f32_e32 v51, v36, v29
	v_fma_f32 v76, v18, v30, -v16
	v_mul_f32_e32 v16, v45, v25
	s_delay_alu instid0(VALU_DEP_3) | instskip(NEXT) | instid1(VALU_DEP_2)
	v_fmac_f32_e32 v51, v37, v28
	v_fma_f32 v74, v44, v24, -v16
	v_mul_f32_e32 v16, v23, v27
	s_delay_alu instid0(VALU_DEP_1) | instskip(SKIP_1) | instid1(VALU_DEP_1)
	v_fma_f32 v83, v22, v26, -v16
	v_mul_f32_e32 v16, v69, v21
	v_fma_f32 v79, v68, v20, -v16
	v_mul_u32_u24_e32 v16, 0xcccd, v115
	s_delay_alu instid0(VALU_DEP_1) | instskip(NEXT) | instid1(VALU_DEP_1)
	v_lshrrev_b32_e32 v104, 19, v16
	v_mul_lo_u16 v16, v104, 10
	s_delay_alu instid0(VALU_DEP_1) | instskip(NEXT) | instid1(VALU_DEP_1)
	v_sub_nc_u16 v105, v113, v16
	v_mul_lo_u16 v16, v105, 40
	s_delay_alu instid0(VALU_DEP_1) | instskip(NEXT) | instid1(VALU_DEP_1)
	v_and_b32_e32 v16, 0xffff, v16
	v_add_co_u32 v20, s4, s6, v16
	s_delay_alu instid0(VALU_DEP_1)
	v_add_co_ci_u32_e64 v21, null, s7, 0, s4
	s_clause 0x2
	global_load_b64 v[44:45], v[20:21], off offset:32
	global_load_b128 v[16:19], v[20:21], off offset:16
	global_load_b128 v[20:23], v[20:21], off
	s_waitcnt vmcnt(2)
	v_mul_f32_e32 v124, v70, v45
	scratch_store_b64 off, v[44:45], off offset:348 ; 8-byte Folded Spill
	s_waitcnt vmcnt(0)
	v_mul_f32_e32 v36, v39, v21
	v_mul_f32_e32 v111, v38, v21
	;; [unrolled: 1-line block ×3, first 2 shown]
	s_waitcnt lgkmcnt(3)
	v_dual_fmac_f32 v124, v71, v44 :: v_dual_mul_f32 v123, v56, v19
	v_fma_f32 v110, v38, v20, -v36
	v_mul_f32_e32 v36, v87, v23
	v_fmac_f32_e32 v111, v39, v20
	s_delay_alu instid0(VALU_DEP_4) | instskip(SKIP_1) | instid1(VALU_DEP_4)
	v_dual_fmac_f32 v120, v47, v16 :: v_dual_fmac_f32 v123, v57, v18
	v_mul_f32_e32 v119, v86, v23
	v_fma_f32 v117, v86, v22, -v36
	v_mul_f32_e32 v36, v47, v17
	s_delay_alu instid0(VALU_DEP_3) | instskip(NEXT) | instid1(VALU_DEP_2)
	v_fmac_f32_e32 v119, v87, v22
	v_fma_f32 v118, v46, v16, -v36
	v_mul_f32_e32 v36, v57, v19
	s_delay_alu instid0(VALU_DEP_1) | instskip(SKIP_1) | instid1(VALU_DEP_1)
	v_fma_f32 v121, v56, v18, -v36
	v_mul_f32_e32 v36, v71, v45
	v_fma_f32 v122, v70, v44, -v36
	v_mul_u32_u24_e32 v36, 0xcccd, v116
	s_delay_alu instid0(VALU_DEP_1) | instskip(NEXT) | instid1(VALU_DEP_1)
	v_lshrrev_b32_e32 v106, 19, v36
	v_mul_lo_u16 v36, v106, 10
	s_delay_alu instid0(VALU_DEP_1) | instskip(NEXT) | instid1(VALU_DEP_1)
	v_sub_nc_u16 v107, v150, v36
	v_mul_lo_u16 v36, v107, 40
	s_delay_alu instid0(VALU_DEP_1) | instskip(NEXT) | instid1(VALU_DEP_1)
	v_and_b32_e32 v36, 0xffff, v36
	v_add_co_u32 v44, s4, s6, v36
	s_delay_alu instid0(VALU_DEP_1)
	v_add_co_ci_u32_e64 v45, null, s7, 0, s4
	s_clause 0x2
	global_load_b64 v[68:69], v[44:45], off offset:32
	global_load_b128 v[36:39], v[44:45], off offset:16
	global_load_b128 v[44:47], v[44:45], off
	s_waitcnt vmcnt(2) lgkmcnt(0)
	v_mul_f32_e32 v132, v40, v69
	s_waitcnt vmcnt(1)
	v_mul_f32_e32 v130, v58, v39
	s_waitcnt vmcnt(0)
	v_mul_f32_e32 v56, v65, v45
	v_mul_f32_e32 v126, v64, v45
	scratch_store_b64 off, v[68:69], off offset:368 ; 8-byte Folded Spill
	v_fmac_f32_e32 v132, v41, v68
	v_fmac_f32_e32 v130, v59, v38
	v_fma_f32 v125, v64, v44, -v56
	v_mul_f32_e32 v56, v89, v47
	v_dual_fmac_f32 v126, v65, v44 :: v_dual_mul_f32 v129, v88, v47
	s_delay_alu instid0(VALU_DEP_2) | instskip(SKIP_1) | instid1(VALU_DEP_3)
	v_fma_f32 v128, v88, v46, -v56
	v_mul_f32_e32 v56, v53, v37
	v_fmac_f32_e32 v129, v89, v46
	s_delay_alu instid0(VALU_DEP_2) | instskip(SKIP_2) | instid1(VALU_DEP_2)
	v_fma_f32 v127, v52, v36, -v56
	v_mul_f32_e32 v56, v41, v69
	v_mul_f32_e32 v52, v52, v37
	v_fma_f32 v131, v40, v68, -v56
	v_mul_u32_u24_e32 v40, 0xcccd, v161
	s_delay_alu instid0(VALU_DEP_3) | instskip(NEXT) | instid1(VALU_DEP_2)
	v_dual_fmac_f32 v52, v53, v36 :: v_dual_mul_f32 v53, v59, v39
	v_lshrrev_b32_e32 v108, 19, v40
	s_delay_alu instid0(VALU_DEP_2) | instskip(NEXT) | instid1(VALU_DEP_2)
	v_fma_f32 v53, v58, v38, -v53
	v_mul_lo_u16 v40, v108, 10
	s_delay_alu instid0(VALU_DEP_1) | instskip(NEXT) | instid1(VALU_DEP_1)
	v_sub_nc_u16 v109, v161, v40
	v_mul_lo_u16 v40, v109, 40
	s_delay_alu instid0(VALU_DEP_1) | instskip(NEXT) | instid1(VALU_DEP_1)
	v_and_b32_e32 v40, 0xffff, v40
	v_add_co_u32 v40, s4, s6, v40
	s_delay_alu instid0(VALU_DEP_1)
	v_add_co_ci_u32_e64 v41, null, s7, 0, s4
	s_clause 0x2
	global_load_b64 v[64:65], v[40:41], off offset:32
	global_load_b128 v[56:59], v[40:41], off offset:16
	global_load_b128 v[68:71], v[40:41], off
	v_add_f32_e32 v41, v78, v82
	s_waitcnt vmcnt(2)
	v_mul_f32_e32 v158, v42, v65
	s_waitcnt vmcnt(1)
	v_mul_f32_e32 v156, v48, v59
	;; [unrolled: 2-line block ×3, first 2 shown]
	v_mul_f32_e32 v138, v54, v57
	v_mul_f32_e32 v136, v60, v71
	v_fmac_f32_e32 v158, v43, v64
	v_fmac_f32_e32 v156, v49, v58
	v_fma_f32 v133, v66, v68, -v40
	v_mul_f32_e32 v40, v61, v71
	v_fmac_f32_e32 v138, v55, v56
	v_mul_f32_e32 v134, v66, v69
	scratch_store_b64 off, v[64:65], off offset:444 ; 8-byte Folded Spill
	v_fmac_f32_e32 v136, v61, v70
	v_fma_f32 v135, v60, v70, -v40
	v_dual_mul_f32 v40, v55, v57 :: v_dual_add_f32 v55, v73, v63
	v_fmac_f32_e32 v134, v67, v68
	s_waitcnt_vscnt null, 0x0
	s_barrier
	s_delay_alu instid0(VALU_DEP_2)
	v_fma_f32 v137, v54, v56, -v40
	v_dual_mul_f32 v40, v49, v59 :: v_dual_add_f32 v49, v3, v62
	buffer_gl0_inv
	scratch_store_b32 off, v100, off offset:432 ; 4-byte Folded Spill
	v_fma_f32 v139, v48, v58, -v40
	v_dual_mul_f32 v40, v43, v65 :: v_dual_add_f32 v43, v81, v84
	s_delay_alu instid0(VALU_DEP_1) | instskip(SKIP_2) | instid1(VALU_DEP_2)
	v_fma_f32 v157, v42, v64, -v40
	v_add_f32_e32 v40, v32, v78
	v_fma_f32 v32, -0.5, v41, v32
	v_dual_sub_f32 v41, v81, v84 :: v_dual_add_f32 v40, v40, v82
	s_delay_alu instid0(VALU_DEP_1) | instskip(SKIP_4) | instid1(VALU_DEP_1)
	v_fmamk_f32 v42, v41, 0x3f5db3d7, v32
	v_fmac_f32_e32 v32, 0xbf5db3d7, v41
	v_add_f32_e32 v41, v33, v81
	v_fma_f32 v33, -0.5, v43, v33
	v_sub_f32_e32 v43, v78, v82
	v_dual_add_f32 v41, v41, v84 :: v_dual_fmamk_f32 v48, v43, 0xbf5db3d7, v33
	v_fmac_f32_e32 v33, 0x3f5db3d7, v43
	v_dual_add_f32 v43, v72, v3 :: v_dual_fmac_f32 v72, -0.5, v49
	v_sub_f32_e32 v49, v73, v63
	v_sub_f32_e32 v3, v3, v62
	s_delay_alu instid0(VALU_DEP_2) | instskip(SKIP_2) | instid1(VALU_DEP_3)
	v_dual_add_f32 v43, v43, v62 :: v_dual_fmamk_f32 v54, v49, 0x3f5db3d7, v72
	v_fmac_f32_e32 v72, 0xbf5db3d7, v49
	v_dual_add_f32 v49, v2, v73 :: v_dual_fmac_f32 v2, -0.5, v55
	v_add_f32_e32 v88, v40, v43
	v_sub_f32_e32 v98, v40, v43
	s_delay_alu instid0(VALU_DEP_3) | instskip(NEXT) | instid1(VALU_DEP_4)
	v_dual_mul_f32 v60, -0.5, v72 :: v_dual_add_f32 v49, v49, v63
	v_fmamk_f32 v55, v3, 0xbf5db3d7, v2
	v_dual_fmac_f32 v2, 0x3f5db3d7, v3 :: v_dual_add_f32 v43, v75, v80
	s_delay_alu instid0(VALU_DEP_3) | instskip(NEXT) | instid1(VALU_DEP_2)
	v_add_f32_e32 v89, v41, v49
	v_dual_mul_f32 v3, 0x3f5db3d7, v55 :: v_dual_fmac_f32 v60, 0x3f5db3d7, v2
	v_dual_mul_f32 v2, -0.5, v2 :: v_dual_sub_f32 v99, v41, v49
	v_add_f32_e32 v41, v74, v79
	s_delay_alu instid0(VALU_DEP_3) | instskip(NEXT) | instid1(VALU_DEP_3)
	v_dual_fmac_f32 v3, 0.5, v54 :: v_dual_add_f32 v90, v32, v60
	v_fmac_f32_e32 v2, 0xbf5db3d7, v72
	v_sub_f32_e32 v96, v32, v60
	v_sub_f32_e32 v32, v77, v85
	s_delay_alu instid0(VALU_DEP_4)
	v_add_f32_e32 v92, v42, v3
	v_sub_f32_e32 v94, v42, v3
	v_add_f32_e32 v3, v76, v83
	v_add_f32_e32 v91, v33, v2
	v_dual_sub_f32 v97, v33, v2 :: v_dual_add_f32 v2, v34, v76
	v_mul_f32_e32 v54, 0xbf5db3d7, v54
	s_delay_alu instid0(VALU_DEP_4) | instskip(SKIP_1) | instid1(VALU_DEP_4)
	v_fma_f32 v3, -0.5, v3, v34
	v_add_f32_e32 v34, v77, v85
	v_add_f32_e32 v2, v2, v83
	s_delay_alu instid0(VALU_DEP_3) | instskip(SKIP_1) | instid1(VALU_DEP_4)
	v_dual_fmac_f32 v54, 0.5, v55 :: v_dual_fmamk_f32 v33, v32, 0x3f5db3d7, v3
	v_dual_fmac_f32 v3, 0xbf5db3d7, v32 :: v_dual_add_f32 v32, v35, v77
	v_dual_fmac_f32 v35, -0.5, v34 :: v_dual_sub_f32 v34, v76, v83
	s_delay_alu instid0(VALU_DEP_3) | instskip(SKIP_1) | instid1(VALU_DEP_4)
	v_add_f32_e32 v93, v48, v54
	v_sub_f32_e32 v95, v48, v54
	v_add_f32_e32 v32, v32, v85
	ds_store_2addr_b64 v100, v[88:89], v[92:93] offset1:10
	ds_store_2addr_b64 v100, v[90:91], v[98:99] offset0:20 offset1:30
	ds_store_2addr_b64 v100, v[94:95], v[96:97] offset0:40 offset1:50
	v_fmamk_f32 v40, v34, 0xbf5db3d7, v35
	v_fmac_f32_e32 v35, 0x3f5db3d7, v34
	v_add_f32_e32 v34, v50, v74
	v_dual_fmac_f32 v50, -0.5, v41 :: v_dual_sub_f32 v41, v75, v80
	v_and_b32_e32 v88, 0xffff, v102
	s_delay_alu instid0(VALU_DEP_3) | instskip(NEXT) | instid1(VALU_DEP_3)
	v_add_f32_e32 v34, v34, v79
	v_fmamk_f32 v42, v41, 0x3f5db3d7, v50
	v_dual_fmac_f32 v50, 0xbf5db3d7, v41 :: v_dual_add_f32 v41, v51, v75
	v_fmac_f32_e32 v51, -0.5, v43
	v_sub_f32_e32 v43, v74, v79
	v_add_f32_e32 v82, v2, v34
	s_delay_alu instid0(VALU_DEP_4) | instskip(SKIP_1) | instid1(VALU_DEP_4)
	v_mul_f32_e32 v49, -0.5, v50
	v_dual_add_f32 v41, v41, v80 :: v_dual_sub_f32 v84, v2, v34
	v_fmamk_f32 v48, v43, 0xbf5db3d7, v51
	v_dual_fmac_f32 v51, 0x3f5db3d7, v43 :: v_dual_add_f32 v2, v4, v117
	s_delay_alu instid0(VALU_DEP_3) | instskip(SKIP_1) | instid1(VALU_DEP_4)
	v_add_f32_e32 v83, v32, v41
	v_sub_f32_e32 v85, v32, v41
	v_mul_f32_e32 v43, 0x3f5db3d7, v48
	s_delay_alu instid0(VALU_DEP_4) | instskip(SKIP_2) | instid1(VALU_DEP_4)
	v_fmac_f32_e32 v49, 0x3f5db3d7, v51
	v_dual_add_f32 v41, v120, v124 :: v_dual_add_f32 v2, v2, v121
	v_mul_u32_u24_e32 v88, 60, v88
	v_fmac_f32_e32 v43, 0.5, v42
	v_mul_f32_e32 v42, 0xbf5db3d7, v42
	v_add_f32_e32 v76, v3, v49
	v_sub_f32_e32 v80, v3, v49
	v_add_f32_e32 v3, v117, v121
	v_add_f32_e32 v86, v33, v43
	v_fmac_f32_e32 v42, 0.5, v48
	v_mul_f32_e32 v48, -0.5, v51
	v_sub_f32_e32 v78, v33, v43
	v_fma_f32 v3, -0.5, v3, v4
	v_sub_f32_e32 v4, v119, v123
	s_delay_alu instid0(VALU_DEP_4) | instskip(SKIP_2) | instid1(VALU_DEP_4)
	v_dual_add_f32 v33, v119, v123 :: v_dual_fmac_f32 v48, 0xbf5db3d7, v50
	v_add_f32_e32 v87, v40, v42
	v_sub_f32_e32 v79, v40, v42
	v_fmamk_f32 v32, v4, 0x3f5db3d7, v3
	v_fmac_f32_e32 v3, 0xbf5db3d7, v4
	v_add_f32_e32 v77, v35, v48
	v_dual_sub_f32 v81, v35, v48 :: v_dual_add_f32 v4, v5, v119
	v_fma_f32 v5, -0.5, v33, v5
	v_sub_f32_e32 v33, v117, v121
	v_add_f32_e32 v35, v118, v122
	v_add_lshl_u32 v88, v88, v103, 3
	v_add_f32_e32 v4, v4, v123
	s_delay_alu instid0(VALU_DEP_4)
	v_fmamk_f32 v34, v33, 0xbf5db3d7, v5
	v_fmac_f32_e32 v5, 0x3f5db3d7, v33
	v_dual_add_f32 v33, v110, v118 :: v_dual_fmac_f32 v110, -0.5, v35
	v_sub_f32_e32 v35, v120, v124
	scratch_store_b32 off, v88, off offset:404 ; 4-byte Folded Spill
	ds_store_2addr_b64 v88, v[82:83], v[86:87] offset1:10
	ds_store_2addr_b64 v88, v[76:77], v[84:85] offset0:20 offset1:30
	ds_store_2addr_b64 v88, v[78:79], v[80:81] offset0:40 offset1:50
	v_add_f32_e32 v33, v33, v122
	v_mad_u16 v76, v104, 60, v105
	v_fmamk_f32 v40, v35, 0x3f5db3d7, v110
	v_dual_fmac_f32 v110, 0xbf5db3d7, v35 :: v_dual_add_f32 v35, v111, v120
	v_fmac_f32_e32 v111, -0.5, v41
	v_sub_f32_e32 v41, v118, v122
	s_delay_alu instid0(VALU_DEP_3) | instskip(NEXT) | instid1(VALU_DEP_4)
	v_dual_add_f32 v66, v2, v33 :: v_dual_mul_f32 v43, -0.5, v110
	v_dual_add_f32 v35, v35, v124 :: v_dual_sub_f32 v72, v2, v33
	s_delay_alu instid0(VALU_DEP_3) | instskip(SKIP_1) | instid1(VALU_DEP_3)
	v_fmamk_f32 v42, v41, 0xbf5db3d7, v111
	v_dual_fmac_f32 v111, 0x3f5db3d7, v41 :: v_dual_add_f32 v2, v6, v128
	v_add_f32_e32 v67, v4, v35
	v_sub_f32_e32 v73, v4, v35
	s_delay_alu instid0(VALU_DEP_4) | instskip(NEXT) | instid1(VALU_DEP_4)
	v_mul_f32_e32 v41, 0x3f5db3d7, v42
	v_dual_fmac_f32 v43, 0x3f5db3d7, v111 :: v_dual_sub_f32 v4, v129, v130
	v_add_f32_e32 v33, v127, v131
	v_add_f32_e32 v35, v52, v132
	s_delay_alu instid0(VALU_DEP_4) | instskip(SKIP_3) | instid1(VALU_DEP_4)
	v_fmac_f32_e32 v41, 0.5, v40
	v_mul_f32_e32 v40, 0xbf5db3d7, v40
	v_add_f32_e32 v60, v3, v43
	v_dual_sub_f32 v64, v3, v43 :: v_dual_add_f32 v3, v128, v53
	v_add_f32_e32 v74, v32, v41
	s_delay_alu instid0(VALU_DEP_4) | instskip(SKIP_3) | instid1(VALU_DEP_4)
	v_fmac_f32_e32 v40, 0.5, v42
	v_mul_f32_e32 v42, -0.5, v111
	v_sub_f32_e32 v62, v32, v41
	v_fma_f32 v3, -0.5, v3, v6
	v_dual_add_f32 v6, v129, v130 :: v_dual_add_f32 v75, v34, v40
	s_delay_alu instid0(VALU_DEP_4) | instskip(SKIP_1) | instid1(VALU_DEP_2)
	v_dual_fmac_f32 v42, 0xbf5db3d7, v110 :: v_dual_sub_f32 v63, v34, v40
	v_add_f32_e32 v2, v2, v53
	v_dual_add_f32 v61, v5, v42 :: v_dual_and_b32 v76, 0xffff, v76
	v_sub_f32_e32 v65, v5, v42
	v_fmamk_f32 v5, v4, 0x3f5db3d7, v3
	v_dual_fmac_f32 v3, 0xbf5db3d7, v4 :: v_dual_add_f32 v4, v7, v129
	v_dual_fmac_f32 v7, -0.5, v6 :: v_dual_sub_f32 v6, v128, v53
	v_lshlrev_b32_e32 v76, 3, v76
	s_delay_alu instid0(VALU_DEP_3) | instskip(NEXT) | instid1(VALU_DEP_3)
	v_add_f32_e32 v4, v4, v130
	v_fmamk_f32 v32, v6, 0xbf5db3d7, v7
	v_dual_fmac_f32 v7, 0x3f5db3d7, v6 :: v_dual_add_f32 v6, v125, v127
	v_fmac_f32_e32 v125, -0.5, v33
	v_sub_f32_e32 v33, v52, v132
	scratch_store_b32 off, v76, off offset:384 ; 4-byte Folded Spill
	ds_store_2addr_b64 v76, v[66:67], v[74:75] offset1:10
	ds_store_2addr_b64 v76, v[60:61], v[72:73] offset0:20 offset1:30
	ds_store_2addr_b64 v76, v[62:63], v[64:65] offset0:40 offset1:50
	v_add_f32_e32 v6, v6, v131
	v_mad_u16 v60, v106, 60, v107
	v_fmamk_f32 v34, v33, 0x3f5db3d7, v125
	v_fmac_f32_e32 v125, 0xbf5db3d7, v33
	v_dual_add_f32 v33, v126, v52 :: v_dual_fmac_f32 v126, -0.5, v35
	v_dual_sub_f32 v35, v127, v131 :: v_dual_add_f32 v50, v2, v6
	s_delay_alu instid0(VALU_DEP_2) | instskip(NEXT) | instid1(VALU_DEP_2)
	v_dual_sub_f32 v52, v2, v6 :: v_dual_add_f32 v33, v33, v132
	v_dual_add_f32 v2, v0, v135 :: v_dual_fmamk_f32 v41, v35, 0xbf5db3d7, v126
	v_dual_fmac_f32 v126, 0x3f5db3d7, v35 :: v_dual_mul_f32 v43, -0.5, v125
	s_delay_alu instid0(VALU_DEP_3) | instskip(SKIP_1) | instid1(VALU_DEP_4)
	v_add_f32_e32 v51, v4, v33
	v_sub_f32_e32 v53, v4, v33
	v_dual_mul_f32 v35, 0x3f5db3d7, v41 :: v_dual_add_f32 v4, v2, v139
	s_delay_alu instid0(VALU_DEP_4) | instskip(SKIP_1) | instid1(VALU_DEP_3)
	v_dual_add_f32 v2, v135, v139 :: v_dual_fmac_f32 v43, 0x3f5db3d7, v126
	v_mul_f32_e32 v49, -0.5, v126
	v_fmac_f32_e32 v35, 0.5, v34
	v_mul_f32_e32 v34, 0xbf5db3d7, v34
	s_delay_alu instid0(VALU_DEP_4)
	v_fma_f32 v0, -0.5, v2, v0
	v_sub_f32_e32 v2, v136, v156
	v_add_f32_e32 v40, v3, v43
	v_add_f32_e32 v54, v5, v35
	v_sub_f32_e32 v42, v5, v35
	v_fmac_f32_e32 v34, 0.5, v41
	v_fmamk_f32 v5, v2, 0x3f5db3d7, v0
	v_fmac_f32_e32 v0, 0xbf5db3d7, v2
	v_add_f32_e32 v2, v1, v136
	s_delay_alu instid0(VALU_DEP_4) | instskip(SKIP_1) | instid1(VALU_DEP_3)
	v_dual_sub_f32 v48, v3, v43 :: v_dual_add_f32 v55, v32, v34
	v_dual_sub_f32 v43, v32, v34 :: v_dual_and_b32 v60, 0xffff, v60
	v_add_f32_e32 v33, v2, v156
	v_dual_add_f32 v2, v136, v156 :: v_dual_fmac_f32 v49, 0xbf5db3d7, v125
	s_delay_alu instid0(VALU_DEP_1) | instskip(SKIP_1) | instid1(VALU_DEP_3)
	v_dual_fmac_f32 v1, -0.5, v2 :: v_dual_lshlrev_b32 v60, 3, v60
	v_sub_f32_e32 v2, v135, v139
	v_add_f32_e32 v41, v7, v49
	v_sub_f32_e32 v49, v7, v49
	scratch_store_b32 off, v60, off offset:364 ; 4-byte Folded Spill
	ds_store_2addr_b64 v60, v[50:51], v[54:55] offset1:10
	ds_store_2addr_b64 v60, v[40:41], v[52:53] offset0:20 offset1:30
	ds_store_2addr_b64 v60, v[42:43], v[48:49] offset0:40 offset1:50
	v_fmamk_f32 v110, v2, 0xbf5db3d7, v1
	v_dual_fmac_f32 v1, 0x3f5db3d7, v2 :: v_dual_add_f32 v2, v133, v137
	v_mad_u16 v40, v108, 60, v109
	s_delay_alu instid0(VALU_DEP_2) | instskip(SKIP_1) | instid1(VALU_DEP_3)
	v_add_f32_e32 v32, v2, v157
	v_add_f32_e32 v2, v137, v157
	v_and_b32_e32 v40, 0xffff, v40
	s_delay_alu instid0(VALU_DEP_2) | instskip(SKIP_1) | instid1(VALU_DEP_3)
	v_dual_add_f32 v6, v4, v32 :: v_dual_fmac_f32 v133, -0.5, v2
	v_sub_f32_e32 v2, v138, v158
	v_lshlrev_b32_e32 v40, 3, v40
	s_delay_alu instid0(VALU_DEP_2)
	v_dual_sub_f32 v32, v4, v32 :: v_dual_fmamk_f32 v3, v2, 0x3f5db3d7, v133
	v_fmac_f32_e32 v133, 0xbf5db3d7, v2
	v_add_f32_e32 v2, v134, v138
	scratch_store_b32 off, v40, off offset:344 ; 4-byte Folded Spill
	v_dual_mul_f32 v119, 0xbf5db3d7, v3 :: v_dual_mul_f32 v118, -0.5, v133
	v_add_f32_e32 v111, v2, v158
	s_delay_alu instid0(VALU_DEP_1) | instskip(NEXT) | instid1(VALU_DEP_1)
	v_dual_add_f32 v2, v138, v158 :: v_dual_add_f32 v7, v33, v111
	v_fmac_f32_e32 v134, -0.5, v2
	v_sub_f32_e32 v2, v137, v157
	v_sub_f32_e32 v33, v33, v111
	s_delay_alu instid0(VALU_DEP_2) | instskip(NEXT) | instid1(VALU_DEP_1)
	v_fmamk_f32 v35, v2, 0xbf5db3d7, v134
	v_dual_fmac_f32 v134, 0x3f5db3d7, v2 :: v_dual_mul_f32 v117, 0x3f5db3d7, v35
	s_delay_alu instid0(VALU_DEP_1) | instskip(NEXT) | instid1(VALU_DEP_2)
	v_dual_mul_f32 v120, -0.5, v134 :: v_dual_fmac_f32 v119, 0.5, v35
	v_dual_fmac_f32 v118, 0x3f5db3d7, v134 :: v_dual_fmac_f32 v117, 0.5, v3
	s_delay_alu instid0(VALU_DEP_2) | instskip(NEXT) | instid1(VALU_DEP_2)
	v_dual_fmac_f32 v120, 0xbf5db3d7, v133 :: v_dual_add_f32 v35, v110, v119
	v_add_f32_e32 v2, v0, v118
	v_sub_f32_e32 v0, v0, v118
	s_delay_alu instid0(VALU_DEP_4) | instskip(NEXT) | instid1(VALU_DEP_4)
	v_add_f32_e32 v34, v5, v117
	v_add_f32_e32 v3, v1, v120
	v_dual_sub_f32 v4, v5, v117 :: v_dual_sub_f32 v5, v110, v119
	v_sub_f32_e32 v1, v1, v120
	ds_store_2addr_b64 v40, v[6:7], v[34:35] offset1:10
	ds_store_2addr_b64 v40, v[2:3], v[32:33] offset0:20 offset1:30
	ds_store_2addr_b64 v40, v[4:5], v[0:1] offset0:40 offset1:50
	v_subrev_nc_u32_e32 v0, 60, v159
	s_waitcnt lgkmcnt(0)
	s_waitcnt_vscnt null, 0x0
	s_barrier
	buffer_gl0_inv
	ds_load_2addr_b64 v[88:91], v160 offset1:96
	ds_load_2addr_b64 v[80:83], v140 offset0:128 offset1:224
	ds_load_2addr_b64 v[32:35], v199 offset0:64 offset1:160
	ds_load_2addr_b64 v[104:107], v146 offset0:64 offset1:160
	ds_load_2addr_b64 v[40:43], v213 offset0:128 offset1:224
	ds_load_2addr_b64 v[96:99], v214 offset1:96
	ds_load_2addr_b64 v[52:55], v144 offset0:64 offset1:160
	ds_load_2addr_b64 v[64:67], v205 offset1:96
	ds_load_2addr_b64 v[72:75], v202 offset0:64 offset1:160
	ds_load_2addr_b64 v[84:87], v215 offset0:64 offset1:160
	;; [unrolled: 1-line block ×4, first 2 shown]
	ds_load_2addr_b64 v[108:111], v143 offset1:96
	ds_load_2addr_b64 v[100:103], v142 offset0:64 offset1:160
	ds_load_2addr_b64 v[92:95], v141 offset0:128 offset1:224
	v_dual_cndmask_b32 v163, v0, v159 :: v_dual_mov_b32 v2, v159
	s_delay_alu instid0(VALU_DEP_1) | instskip(SKIP_1) | instid1(VALU_DEP_2)
	v_mul_i32_i24_e32 v1, 40, v163
	v_mul_hi_i32_i24_e32 v0, 40, v163
	v_add_co_u32 v4, vcc_lo, s6, v1
	s_delay_alu instid0(VALU_DEP_2)
	v_add_co_ci_u32_e32 v5, vcc_lo, s7, v0, vcc_lo
	s_clause 0x2
	global_load_b64 v[0:1], v[4:5], off offset:432
	global_load_b128 v[193:196], v[4:5], off offset:416
	global_load_b128 v[4:7], v[4:5], off offset:400
	v_cmp_lt_u16_e64 vcc_lo, 59, v145
	s_waitcnt vmcnt(2)
	scratch_store_b64 off, v[0:1], off offset:316 ; 8-byte Folded Spill
	s_waitcnt vmcnt(1) lgkmcnt(11)
	v_mul_f32_e32 v118, v106, v194
	s_waitcnt vmcnt(0)
	v_mul_f32_e32 v48, v83, v5
	v_mul_f32_e32 v120, v32, v7
	s_waitcnt lgkmcnt(10)
	v_dual_mul_f32 v121, v40, v196 :: v_dual_fmac_f32 v118, v107, v193
	s_delay_alu instid0(VALU_DEP_3) | instskip(SKIP_4) | instid1(VALU_DEP_4)
	v_fma_f32 v117, v82, v4, -v48
	v_mul_f32_e32 v48, v33, v7
	v_mul_f32_e32 v82, v82, v5
	v_fmac_f32_e32 v120, v33, v6
	v_fmac_f32_e32 v121, v41, v195
	v_fma_f32 v119, v32, v6, -v48
	v_mul_f32_e32 v32, v107, v194
	v_fmac_f32_e32 v82, v83, v4
	s_delay_alu instid0(VALU_DEP_2) | instskip(SKIP_1) | instid1(VALU_DEP_1)
	v_fma_f32 v83, v106, v193, -v32
	v_mul_f32_e32 v32, v41, v196
	v_fma_f32 v107, v40, v195, -v32
	s_waitcnt lgkmcnt(9)
	v_mul_f32_e32 v32, v99, v1
	s_delay_alu instid0(VALU_DEP_1) | instskip(SKIP_2) | instid1(VALU_DEP_2)
	v_fma_f32 v106, v98, v0, -v32
	v_mul_lo_u16 v32, 0x89, v114
	v_mul_f32_e32 v98, v98, v1
	v_lshrrev_b16 v164, 13, v32
	s_delay_alu instid0(VALU_DEP_2) | instskip(NEXT) | instid1(VALU_DEP_2)
	v_fmac_f32_e32 v98, v99, v0
	v_mul_lo_u16 v32, v164, 60
	s_delay_alu instid0(VALU_DEP_1) | instskip(NEXT) | instid1(VALU_DEP_1)
	v_sub_nc_u16 v32, v112, v32
	v_and_b32_e32 v165, 0xff, v32
	s_delay_alu instid0(VALU_DEP_1)
	v_mad_u64_u32 v[32:33], null, v165, 40, s[6:7]
	s_clause 0x2
	global_load_b64 v[0:1], v[32:33], off offset:432
	global_load_b128 v[48:51], v[32:33], off offset:416
	global_load_b128 v[60:63], v[32:33], off offset:400
	s_waitcnt vmcnt(2) lgkmcnt(6)
	v_mul_f32_e32 v126, v72, v1
	s_waitcnt vmcnt(1)
	v_mul_f32_e32 v168, v42, v51
	s_waitcnt vmcnt(0)
	v_mul_f32_e32 v32, v53, v61
	v_mul_f32_e32 v124, v34, v63
	scratch_store_b64 off, v[0:1], off offset:356 ; 8-byte Folded Spill
	v_fmac_f32_e32 v126, v73, v0
	v_fmac_f32_e32 v168, v43, v50
	v_fma_f32 v99, v52, v60, -v32
	v_mul_f32_e32 v32, v35, v63
	v_fmac_f32_e32 v124, v35, v62
	v_mul_f32_e32 v112, v52, v61
	v_mul_f32_e32 v122, v64, v49
	s_delay_alu instid0(VALU_DEP_4) | instskip(SKIP_1) | instid1(VALU_DEP_4)
	v_fma_f32 v123, v34, v62, -v32
	v_mul_f32_e32 v32, v65, v49
	v_fmac_f32_e32 v112, v53, v60
	s_delay_alu instid0(VALU_DEP_4) | instskip(NEXT) | instid1(VALU_DEP_3)
	v_fmac_f32_e32 v122, v65, v48
	v_fma_f32 v114, v64, v48, -v32
	v_mul_f32_e32 v32, v43, v51
	s_delay_alu instid0(VALU_DEP_1) | instskip(SKIP_1) | instid1(VALU_DEP_1)
	v_fma_f32 v127, v42, v50, -v32
	v_mul_f32_e32 v32, v73, v1
	v_fma_f32 v125, v72, v0, -v32
	v_mul_u32_u24_e32 v32, 0x8889, v115
	s_delay_alu instid0(VALU_DEP_1) | instskip(NEXT) | instid1(VALU_DEP_1)
	v_lshrrev_b32_e32 v156, 21, v32
	v_mul_lo_u16 v32, v156, 60
	s_delay_alu instid0(VALU_DEP_1) | instskip(NEXT) | instid1(VALU_DEP_1)
	v_sub_nc_u16 v157, v113, v32
	v_mul_lo_u16 v32, v157, 40
	s_delay_alu instid0(VALU_DEP_1) | instskip(NEXT) | instid1(VALU_DEP_1)
	v_and_b32_e32 v32, 0xffff, v32
	v_add_co_u32 v40, s4, s6, v32
	s_delay_alu instid0(VALU_DEP_1)
	v_add_co_ci_u32_e64 v41, null, s7, 0, s4
	s_clause 0x2
	global_load_b64 v[0:1], v[40:41], off offset:432
	global_load_b128 v[32:35], v[40:41], off offset:416
	global_load_b128 v[40:43], v[40:41], off offset:400
	s_waitcnt vmcnt(2)
	v_mul_f32_e32 v177, v74, v1
	s_waitcnt vmcnt(1)
	v_mul_f32_e32 v171, v66, v33
	;; [unrolled: 2-line block ×3, first 2 shown]
	v_mul_f32_e32 v166, v54, v41
	scratch_store_b64 off, v[0:1], off offset:376 ; 8-byte Folded Spill
	v_fmac_f32_e32 v177, v75, v0
	v_fmac_f32_e32 v171, v67, v32
	v_fma_f32 v113, v54, v40, -v52
	s_waitcnt lgkmcnt(4)
	v_mul_f32_e32 v52, v77, v43
	v_fmac_f32_e32 v166, v55, v40
	v_mul_f32_e32 v170, v76, v43
	s_waitcnt lgkmcnt(3)
	v_mul_f32_e32 v176, v128, v35
	v_fma_f32 v115, v76, v42, -v52
	v_mul_f32_e32 v52, v67, v33
	v_fmac_f32_e32 v170, v77, v42
	s_delay_alu instid0(VALU_DEP_4) | instskip(NEXT) | instid1(VALU_DEP_3)
	v_fmac_f32_e32 v176, v129, v34
	v_fma_f32 v169, v66, v32, -v52
	v_mul_f32_e32 v52, v129, v35
	s_delay_alu instid0(VALU_DEP_1) | instskip(SKIP_1) | instid1(VALU_DEP_1)
	v_fma_f32 v173, v128, v34, -v52
	v_mul_f32_e32 v52, v75, v1
	v_fma_f32 v174, v74, v0, -v52
	v_mul_u32_u24_e32 v52, 0x8889, v116
	s_delay_alu instid0(VALU_DEP_1) | instskip(NEXT) | instid1(VALU_DEP_1)
	v_lshrrev_b32_e32 v158, 21, v52
	v_mul_lo_u16 v52, v158, 60
	s_delay_alu instid0(VALU_DEP_1) | instskip(NEXT) | instid1(VALU_DEP_1)
	v_sub_nc_u16 v159, v150, v52
	v_mul_lo_u16 v52, v159, 40
	s_delay_alu instid0(VALU_DEP_1) | instskip(NEXT) | instid1(VALU_DEP_1)
	v_and_b32_e32 v52, 0xffff, v52
	v_add_co_u32 v64, s4, s6, v52
	s_delay_alu instid0(VALU_DEP_1)
	v_add_co_ci_u32_e64 v65, null, s7, 0, s4
	s_clause 0x2
	global_load_b64 v[0:1], v[64:65], off offset:432
	global_load_b128 v[52:55], v[64:65], off offset:416
	global_load_b128 v[64:67], v[64:65], off offset:400
	s_waitcnt vmcnt(2)
	scratch_store_b64 off, v[0:1], off offset:396 ; 8-byte Folded Spill
	s_waitcnt vmcnt(0) lgkmcnt(2)
	v_dual_mul_f32 v181, v130, v55 :: v_dual_mul_f32 v72, v109, v65
	v_mul_f32_e32 v179, v78, v67
	v_mul_f32_e32 v175, v108, v65
	s_delay_alu instid0(VALU_DEP_3) | instskip(NEXT) | instid1(VALU_DEP_4)
	v_fmac_f32_e32 v181, v131, v54
	v_fma_f32 v172, v108, v64, -v72
	v_mul_f32_e32 v72, v79, v67
	v_fmac_f32_e32 v179, v79, v66
	v_fmac_f32_e32 v175, v109, v64
	s_delay_alu instid0(VALU_DEP_3) | instskip(SKIP_2) | instid1(VALU_DEP_1)
	v_fma_f32 v178, v78, v66, -v72
	s_waitcnt lgkmcnt(1)
	v_mul_f32_e32 v72, v101, v53
	v_fma_f32 v180, v100, v52, -v72
	v_mul_f32_e32 v100, v100, v53
	v_mul_f32_e32 v72, v131, v55
	s_delay_alu instid0(VALU_DEP_2) | instskip(NEXT) | instid1(VALU_DEP_2)
	v_fmac_f32_e32 v100, v101, v52
	v_fma_f32 v101, v130, v54, -v72
	s_waitcnt lgkmcnt(0)
	v_mul_f32_e32 v72, v93, v1
	s_delay_alu instid0(VALU_DEP_1) | instskip(SKIP_1) | instid1(VALU_DEP_1)
	v_fma_f32 v182, v92, v0, -v72
	v_mul_f32_e32 v92, v92, v1
	v_fmac_f32_e32 v92, v93, v0
	v_mov_b32_e32 v0, v161
	s_delay_alu instid0(VALU_DEP_1) | instskip(SKIP_2) | instid1(VALU_DEP_1)
	v_mul_u32_u24_e32 v72, 0x8889, v0
	scratch_store_b32 off, v0, off offset:264 ; 4-byte Folded Spill
	v_lshrrev_b32_e32 v161, 21, v72
	v_mul_lo_u16 v72, v161, 60
	s_delay_alu instid0(VALU_DEP_1) | instskip(NEXT) | instid1(VALU_DEP_1)
	v_sub_nc_u16 v162, v0, v72
	v_mul_lo_u16 v72, v162, 40
	s_delay_alu instid0(VALU_DEP_1) | instskip(NEXT) | instid1(VALU_DEP_1)
	v_and_b32_e32 v72, 0xffff, v72
	v_add_co_u32 v76, s4, s6, v72
	s_delay_alu instid0(VALU_DEP_1)
	v_add_co_ci_u32_e64 v77, null, s7, 0, s4
	s_clause 0x2
	global_load_b64 v[0:1], v[76:77], off offset:432
	global_load_b128 v[72:75], v[76:77], off offset:416
	global_load_b128 v[76:79], v[76:77], off offset:400
	s_waitcnt vmcnt(2)
	v_mul_f32_e32 v192, v94, v1
	s_waitcnt vmcnt(0)
	v_dual_mul_f32 v190, v96, v75 :: v_dual_mul_f32 v93, v111, v77
	v_mul_f32_e32 v188, v102, v73
	v_mul_f32_e32 v186, v104, v79
	v_fmac_f32_e32 v192, v95, v0
	s_delay_alu instid0(VALU_DEP_4)
	v_fmac_f32_e32 v190, v97, v74
	v_fma_f32 v183, v110, v76, -v93
	v_dual_mul_f32 v93, v105, v79 :: v_dual_fmac_f32 v188, v103, v72
	v_mul_f32_e32 v184, v110, v77
	v_fmac_f32_e32 v186, v105, v78
	scratch_store_b64 off, v[0:1], off offset:452 ; 8-byte Folded Spill
	v_fma_f32 v185, v104, v78, -v93
	v_mul_f32_e32 v93, v103, v73
	v_fmac_f32_e32 v184, v111, v76
	s_waitcnt_vscnt null, 0x0
	s_barrier
	buffer_gl0_inv
	v_fma_f32 v187, v102, v72, -v93
	v_dual_mul_f32 v93, v97, v75 :: v_dual_add_f32 v102, v83, v106
	s_delay_alu instid0(VALU_DEP_1) | instskip(SKIP_2) | instid1(VALU_DEP_2)
	v_fma_f32 v189, v96, v74, -v93
	v_mul_f32_e32 v93, v95, v1
	v_add_f32_e32 v96, v120, v121
	v_fma_f32 v191, v94, v0, -v93
	v_add_f32_e32 v94, v119, v107
	v_add_f32_e32 v93, v88, v119
	s_delay_alu instid0(VALU_DEP_2) | instskip(NEXT) | instid1(VALU_DEP_2)
	v_fma_f32 v88, -0.5, v94, v88
	v_dual_sub_f32 v94, v120, v121 :: v_dual_add_f32 v93, v93, v107
	s_delay_alu instid0(VALU_DEP_1) | instskip(SKIP_4) | instid1(VALU_DEP_1)
	v_fmamk_f32 v95, v94, 0x3f5db3d7, v88
	v_fmac_f32_e32 v88, 0xbf5db3d7, v94
	v_add_f32_e32 v94, v89, v120
	v_fma_f32 v89, -0.5, v96, v89
	v_sub_f32_e32 v96, v119, v107
	v_dual_add_f32 v94, v94, v121 :: v_dual_fmamk_f32 v97, v96, 0xbf5db3d7, v89
	v_dual_fmac_f32 v89, 0x3f5db3d7, v96 :: v_dual_add_f32 v96, v117, v83
	v_fmac_f32_e32 v117, -0.5, v102
	v_sub_f32_e32 v102, v118, v98
	v_sub_f32_e32 v83, v83, v106
	s_delay_alu instid0(VALU_DEP_2) | instskip(SKIP_2) | instid1(VALU_DEP_3)
	v_dual_add_f32 v96, v96, v106 :: v_dual_fmamk_f32 v103, v102, 0x3f5db3d7, v117
	v_fmac_f32_e32 v117, 0xbf5db3d7, v102
	v_add_f32_e32 v102, v82, v118
	v_add_f32_e32 v134, v93, v96
	v_sub_f32_e32 v136, v93, v96
	v_add_f32_e32 v96, v122, v126
	v_mul_f32_e32 v104, -0.5, v117
	v_add_f32_e32 v102, v102, v98
	v_add_f32_e32 v98, v118, v98
	s_delay_alu instid0(VALU_DEP_2) | instskip(NEXT) | instid1(VALU_DEP_2)
	v_add_f32_e32 v135, v94, v102
	v_fmac_f32_e32 v82, -0.5, v98
	v_sub_f32_e32 v137, v94, v102
	v_add_f32_e32 v94, v114, v125
	s_delay_alu instid0(VALU_DEP_3) | instskip(NEXT) | instid1(VALU_DEP_1)
	v_fmamk_f32 v98, v83, 0xbf5db3d7, v82
	v_dual_fmac_f32 v82, 0x3f5db3d7, v83 :: v_dual_mul_f32 v83, 0x3f5db3d7, v98
	s_delay_alu instid0(VALU_DEP_1) | instskip(NEXT) | instid1(VALU_DEP_2)
	v_fmac_f32_e32 v104, 0x3f5db3d7, v82
	v_dual_mul_f32 v82, -0.5, v82 :: v_dual_fmac_f32 v83, 0.5, v103
	s_delay_alu instid0(VALU_DEP_2) | instskip(NEXT) | instid1(VALU_DEP_2)
	v_add_f32_e32 v128, v88, v104
	v_fmac_f32_e32 v82, 0xbf5db3d7, v117
	v_sub_f32_e32 v132, v88, v104
	v_sub_f32_e32 v88, v124, v168
	v_add_f32_e32 v138, v95, v83
	v_sub_f32_e32 v130, v95, v83
	v_add_f32_e32 v83, v123, v127
	v_add_f32_e32 v129, v89, v82
	v_dual_sub_f32 v133, v89, v82 :: v_dual_add_f32 v82, v90, v123
	v_mul_f32_e32 v103, 0xbf5db3d7, v103
	s_delay_alu instid0(VALU_DEP_4) | instskip(SKIP_1) | instid1(VALU_DEP_3)
	v_fma_f32 v83, -0.5, v83, v90
	v_add_f32_e32 v90, v124, v168
	v_dual_add_f32 v82, v82, v127 :: v_dual_fmac_f32 v103, 0.5, v98
	s_delay_alu instid0(VALU_DEP_3) | instskip(SKIP_1) | instid1(VALU_DEP_4)
	v_fmamk_f32 v89, v88, 0x3f5db3d7, v83
	v_fmac_f32_e32 v83, 0xbf5db3d7, v88
	v_dual_add_f32 v88, v91, v124 :: v_dual_fmac_f32 v91, -0.5, v90
	v_sub_f32_e32 v90, v123, v127
	v_add_f32_e32 v139, v97, v103
	s_delay_alu instid0(VALU_DEP_3) | instskip(NEXT) | instid1(VALU_DEP_3)
	v_dual_sub_f32 v131, v97, v103 :: v_dual_add_f32 v88, v88, v168
	v_fmamk_f32 v93, v90, 0xbf5db3d7, v91
	v_fmac_f32_e32 v91, 0x3f5db3d7, v90
	v_add_f32_e32 v90, v99, v114
	v_fmac_f32_e32 v99, -0.5, v94
	v_sub_f32_e32 v94, v122, v126
	s_delay_alu instid0(VALU_DEP_3) | instskip(NEXT) | instid1(VALU_DEP_2)
	v_add_f32_e32 v90, v90, v125
	v_fmamk_f32 v95, v94, 0x3f5db3d7, v99
	v_fmac_f32_e32 v99, 0xbf5db3d7, v94
	v_add_f32_e32 v94, v112, v122
	v_fmac_f32_e32 v112, -0.5, v96
	v_sub_f32_e32 v96, v114, v125
	v_add_f32_e32 v124, v82, v90
	v_mul_f32_e32 v98, -0.5, v99
	v_add_f32_e32 v94, v94, v126
	s_delay_alu instid0(VALU_DEP_4) | instskip(SKIP_2) | instid1(VALU_DEP_4)
	v_dual_sub_f32 v122, v82, v90 :: v_dual_fmamk_f32 v97, v96, 0xbf5db3d7, v112
	v_fmac_f32_e32 v112, 0x3f5db3d7, v96
	v_add_f32_e32 v82, v84, v115
	v_add_f32_e32 v125, v88, v94
	s_delay_alu instid0(VALU_DEP_4) | instskip(NEXT) | instid1(VALU_DEP_4)
	v_dual_sub_f32 v123, v88, v94 :: v_dual_mul_f32 v96, 0x3f5db3d7, v97
	v_fmac_f32_e32 v98, 0x3f5db3d7, v112
	v_add_f32_e32 v94, v171, v177
	v_add_f32_e32 v82, v82, v173
	s_delay_alu instid0(VALU_DEP_4) | instskip(NEXT) | instid1(VALU_DEP_4)
	v_fmac_f32_e32 v96, 0.5, v95
	v_dual_mul_f32 v95, 0xbf5db3d7, v95 :: v_dual_add_f32 v120, v83, v98
	v_sub_f32_e32 v118, v83, v98
	s_delay_alu instid0(VALU_DEP_3) | instskip(NEXT) | instid1(VALU_DEP_3)
	v_dual_add_f32 v83, v115, v173 :: v_dual_add_f32 v126, v89, v96
	v_fmac_f32_e32 v95, 0.5, v97
	v_mul_f32_e32 v97, -0.5, v112
	v_sub_f32_e32 v116, v89, v96
	s_delay_alu instid0(VALU_DEP_4) | instskip(SKIP_4) | instid1(VALU_DEP_4)
	v_fma_f32 v83, -0.5, v83, v84
	v_sub_f32_e32 v84, v170, v176
	v_add_f32_e32 v89, v170, v176
	v_fmac_f32_e32 v97, 0xbf5db3d7, v99
	v_add_f32_e32 v127, v93, v95
	v_dual_sub_f32 v117, v93, v95 :: v_dual_fmamk_f32 v88, v84, 0x3f5db3d7, v83
	v_fmac_f32_e32 v83, 0xbf5db3d7, v84
	s_delay_alu instid0(VALU_DEP_4) | instskip(SKIP_3) | instid1(VALU_DEP_3)
	v_add_f32_e32 v121, v91, v97
	v_dual_sub_f32 v119, v91, v97 :: v_dual_add_f32 v84, v85, v170
	v_fma_f32 v85, -0.5, v89, v85
	v_sub_f32_e32 v89, v115, v173
	v_dual_add_f32 v91, v169, v174 :: v_dual_add_f32 v84, v84, v176
	s_delay_alu instid0(VALU_DEP_2) | instskip(SKIP_2) | instid1(VALU_DEP_4)
	v_fmamk_f32 v90, v89, 0xbf5db3d7, v85
	v_fmac_f32_e32 v85, 0x3f5db3d7, v89
	v_add_f32_e32 v89, v113, v169
	v_fmac_f32_e32 v113, -0.5, v91
	v_sub_f32_e32 v91, v171, v177
	s_delay_alu instid0(VALU_DEP_3) | instskip(NEXT) | instid1(VALU_DEP_2)
	v_add_f32_e32 v89, v89, v174
	v_fmamk_f32 v93, v91, 0x3f5db3d7, v113
	v_fmac_f32_e32 v113, 0xbf5db3d7, v91
	v_dual_add_f32 v91, v166, v171 :: v_dual_fmac_f32 v166, -0.5, v94
	v_sub_f32_e32 v94, v169, v174
	v_add_f32_e32 v110, v82, v89
	s_delay_alu instid0(VALU_DEP_4) | instskip(NEXT) | instid1(VALU_DEP_4)
	v_mul_f32_e32 v96, -0.5, v113
	v_add_f32_e32 v91, v91, v177
	v_sub_f32_e32 v112, v82, v89
	v_fmamk_f32 v95, v94, 0xbf5db3d7, v166
	v_fmac_f32_e32 v166, 0x3f5db3d7, v94
	s_delay_alu instid0(VALU_DEP_4) | instskip(NEXT) | instid1(VALU_DEP_3)
	v_dual_add_f32 v82, v86, v178 :: v_dual_add_f32 v111, v84, v91
	v_dual_add_f32 v89, v180, v182 :: v_dual_mul_f32 v94, 0x3f5db3d7, v95
	s_delay_alu instid0(VALU_DEP_3) | instskip(NEXT) | instid1(VALU_DEP_3)
	v_fmac_f32_e32 v96, 0x3f5db3d7, v166
	v_add_f32_e32 v82, v82, v101
	s_delay_alu instid0(VALU_DEP_3) | instskip(NEXT) | instid1(VALU_DEP_3)
	v_fmac_f32_e32 v94, 0.5, v93
	v_dual_mul_f32 v93, 0xbf5db3d7, v93 :: v_dual_add_f32 v104, v83, v96
	v_dual_sub_f32 v108, v83, v96 :: v_dual_add_f32 v83, v178, v101
	s_delay_alu instid0(VALU_DEP_2) | instskip(SKIP_2) | instid1(VALU_DEP_4)
	v_dual_add_f32 v114, v88, v94 :: v_dual_fmac_f32 v93, 0.5, v95
	v_mul_f32_e32 v95, -0.5, v166
	v_sub_f32_e32 v106, v88, v94
	v_fma_f32 v83, -0.5, v83, v86
	v_add_f32_e32 v86, v179, v181
	v_add_f32_e32 v115, v90, v93
	v_fmac_f32_e32 v95, 0xbf5db3d7, v113
	v_dual_sub_f32 v113, v84, v91 :: v_dual_sub_f32 v84, v179, v181
	v_add_f32_e32 v91, v100, v92
	v_sub_f32_e32 v107, v90, v93
	s_delay_alu instid0(VALU_DEP_4) | instskip(SKIP_4) | instid1(VALU_DEP_2)
	v_add_f32_e32 v105, v85, v95
	v_sub_f32_e32 v109, v85, v95
	v_fmamk_f32 v85, v84, 0x3f5db3d7, v83
	v_dual_fmac_f32 v83, 0xbf5db3d7, v84 :: v_dual_add_f32 v84, v87, v179
	v_dual_fmac_f32 v87, -0.5, v86 :: v_dual_sub_f32 v86, v178, v101
	v_add_f32_e32 v84, v84, v181
	s_delay_alu instid0(VALU_DEP_2) | instskip(SKIP_2) | instid1(VALU_DEP_2)
	v_fmamk_f32 v88, v86, 0xbf5db3d7, v87
	v_dual_fmac_f32 v87, 0x3f5db3d7, v86 :: v_dual_add_f32 v86, v172, v180
	v_dual_fmac_f32 v172, -0.5, v89 :: v_dual_sub_f32 v89, v100, v92
	v_add_f32_e32 v86, v86, v182
	s_delay_alu instid0(VALU_DEP_2) | instskip(SKIP_3) | instid1(VALU_DEP_3)
	v_fmamk_f32 v90, v89, 0x3f5db3d7, v172
	v_dual_fmac_f32 v172, 0xbf5db3d7, v89 :: v_dual_add_f32 v89, v175, v100
	v_fmac_f32_e32 v175, -0.5, v91
	v_sub_f32_e32 v91, v180, v182
	v_dual_add_f32 v98, v82, v86 :: v_dual_mul_f32 v95, -0.5, v172
	s_delay_alu instid0(VALU_DEP_4) | instskip(NEXT) | instid1(VALU_DEP_3)
	v_dual_add_f32 v89, v89, v92 :: v_dual_sub_f32 v100, v82, v86
	v_fmamk_f32 v93, v91, 0xbf5db3d7, v175
	v_dual_fmac_f32 v175, 0x3f5db3d7, v91 :: v_dual_add_f32 v82, v80, v185
	s_delay_alu instid0(VALU_DEP_3) | instskip(SKIP_1) | instid1(VALU_DEP_4)
	v_add_f32_e32 v99, v84, v89
	v_sub_f32_e32 v101, v84, v89
	v_mul_f32_e32 v91, 0x3f5db3d7, v93
	s_delay_alu instid0(VALU_DEP_4) | instskip(SKIP_1) | instid1(VALU_DEP_2)
	v_dual_fmac_f32 v95, 0x3f5db3d7, v175 :: v_dual_add_f32 v84, v186, v190
	v_dual_mul_f32 v97, -0.5, v175 :: v_dual_add_f32 v82, v82, v189
	v_dual_fmac_f32 v91, 0.5, v90 :: v_dual_add_f32 v92, v83, v95
	v_dual_sub_f32 v96, v83, v95 :: v_dual_add_f32 v83, v185, v189
	v_mul_f32_e32 v90, 0xbf5db3d7, v90
	s_delay_alu instid0(VALU_DEP_3) | instskip(SKIP_1) | instid1(VALU_DEP_4)
	v_add_f32_e32 v102, v85, v91
	v_dual_sub_f32 v94, v85, v91 :: v_dual_fmac_f32 v97, 0xbf5db3d7, v172
	v_fma_f32 v80, -0.5, v83, v80
	s_delay_alu instid0(VALU_DEP_4) | instskip(NEXT) | instid1(VALU_DEP_3)
	v_dual_sub_f32 v83, v186, v190 :: v_dual_fmac_f32 v90, 0.5, v93
	v_add_f32_e32 v93, v87, v97
	v_sub_f32_e32 v97, v87, v97
	s_delay_alu instid0(VALU_DEP_3) | instskip(SKIP_4) | instid1(VALU_DEP_3)
	v_fmamk_f32 v89, v83, 0x3f5db3d7, v80
	v_dual_fmac_f32 v80, 0xbf5db3d7, v83 :: v_dual_add_f32 v83, v81, v186
	v_dual_fmac_f32 v81, -0.5, v84 :: v_dual_sub_f32 v84, v185, v189
	v_add_f32_e32 v103, v88, v90
	v_sub_f32_e32 v95, v88, v90
	v_dual_add_f32 v83, v83, v190 :: v_dual_fmamk_f32 v166, v84, 0xbf5db3d7, v81
	v_dual_fmac_f32 v81, 0x3f5db3d7, v84 :: v_dual_add_f32 v84, v183, v187
	s_delay_alu instid0(VALU_DEP_1) | instskip(SKIP_1) | instid1(VALU_DEP_2)
	v_add_f32_e32 v88, v84, v191
	v_add_f32_e32 v84, v187, v191
	;; [unrolled: 1-line block ×3, first 2 shown]
	s_delay_alu instid0(VALU_DEP_2) | instskip(SKIP_1) | instid1(VALU_DEP_1)
	v_fmac_f32_e32 v183, -0.5, v84
	v_sub_f32_e32 v84, v188, v192
	v_dual_sub_f32 v88, v82, v88 :: v_dual_fmamk_f32 v85, v84, 0x3f5db3d7, v183
	v_fmac_f32_e32 v183, 0xbf5db3d7, v84
	s_delay_alu instid0(VALU_DEP_2) | instskip(NEXT) | instid1(VALU_DEP_2)
	v_dual_add_f32 v84, v184, v188 :: v_dual_mul_f32 v171, 0xbf5db3d7, v85
	v_mul_f32_e32 v170, -0.5, v183
	s_delay_alu instid0(VALU_DEP_2) | instskip(SKIP_1) | instid1(VALU_DEP_2)
	v_add_f32_e32 v168, v84, v192
	v_add_f32_e32 v84, v188, v192
	v_dual_mov_b32 v192, v213 :: v_dual_add_f32 v87, v83, v168
	s_delay_alu instid0(VALU_DEP_2) | instskip(SKIP_1) | instid1(VALU_DEP_1)
	v_fmac_f32_e32 v184, -0.5, v84
	v_sub_f32_e32 v84, v187, v191
	v_fmamk_f32 v91, v84, 0xbf5db3d7, v184
	s_delay_alu instid0(VALU_DEP_1) | instskip(NEXT) | instid1(VALU_DEP_1)
	v_dual_fmac_f32 v184, 0x3f5db3d7, v84 :: v_dual_mul_f32 v169, 0x3f5db3d7, v91
	v_dual_fmac_f32 v171, 0.5, v91 :: v_dual_mul_f32 v172, -0.5, v184
	s_delay_alu instid0(VALU_DEP_2) | instskip(NEXT) | instid1(VALU_DEP_2)
	v_dual_fmac_f32 v170, 0x3f5db3d7, v184 :: v_dual_fmac_f32 v169, 0.5, v85
	v_add_f32_e32 v91, v166, v171
	s_delay_alu instid0(VALU_DEP_3) | instskip(NEXT) | instid1(VALU_DEP_3)
	v_fmac_f32_e32 v172, 0xbf5db3d7, v183
	v_add_f32_e32 v84, v80, v170
	v_sub_f32_e32 v80, v80, v170
	v_add_f32_e32 v90, v89, v169
	v_dual_sub_f32 v82, v89, v169 :: v_dual_sub_f32 v89, v83, v168
	v_sub_f32_e32 v83, v166, v171
	v_cndmask_b32_e64 v166, 0, 0x168, vcc_lo
	v_add_f32_e32 v85, v81, v172
	v_dual_sub_f32 v81, v81, v172 :: v_dual_mov_b32 v170, v146
	v_mov_b32_e32 v172, v202
	s_delay_alu instid0(VALU_DEP_4)
	v_add_lshl_u32 v0, v163, v166, 3
	v_mov_b32_e32 v171, v201
	ds_store_2addr_b64 v0, v[128:129], v[136:137] offset0:120 offset1:180
	v_and_b32_e32 v128, 0xffff, v164
	ds_store_2addr_b64 v0, v[134:135], v[138:139] offset1:60
	scratch_store_b32 off, v0, off offset:424 ; 4-byte Folded Spill
	v_add_nc_u32_e32 v0, 0x400, v0
	v_mul_u32_u24_e32 v128, 0x168, v128
	scratch_store_b32 off, v0, off offset:300 ; 4-byte Folded Spill
	ds_store_2addr_b64 v0, v[130:131], v[132:133] offset0:112 offset1:172
	v_add_lshl_u32 v0, v128, v165, 3
	s_delay_alu instid0(VALU_DEP_1)
	v_add_nc_u32_e32 v1, 0x400, v0
	ds_store_2addr_b64 v0, v[124:125], v[126:127] offset1:60
	scratch_store_b32 off, v0, off offset:324 ; 4-byte Folded Spill
	ds_store_2addr_b64 v0, v[120:121], v[122:123] offset0:120 offset1:180
	scratch_store_b32 off, v1, off offset:308 ; 4-byte Folded Spill
	ds_store_2addr_b64 v1, v[116:117], v[118:119] offset0:112 offset1:172
	v_mad_u16 v116, 0x168, v156, v157
	v_add_co_u32 v118, s4, s6, v160
	s_delay_alu instid0(VALU_DEP_1) | instskip(NEXT) | instid1(VALU_DEP_3)
	v_add_co_ci_u32_e64 v119, null, s7, 0, s4
	v_and_b32_e32 v116, 0xffff, v116
	s_delay_alu instid0(VALU_DEP_1)
	v_lshlrev_b32_e32 v0, 3, v116
	scratch_store_b32 off, v0, off offset:408 ; 4-byte Folded Spill
	ds_store_2addr_b64 v0, v[110:111], v[114:115] offset1:60
	ds_store_2addr_b64 v0, v[104:105], v[112:113] offset0:120 offset1:180
	v_mad_u16 v104, 0x168, v158, v159
	v_add_nc_u32_e32 v1, 0x400, v0
	s_delay_alu instid0(VALU_DEP_2)
	v_and_b32_e32 v104, 0xffff, v104
	ds_store_2addr_b64 v1, v[106:107], v[108:109] offset0:112 offset1:172
	v_lshlrev_b32_e32 v0, 3, v104
	s_clause 0x1
	scratch_store_b32 off, v1, off offset:388
	scratch_store_b32 off, v0, off offset:420
	ds_store_2addr_b64 v0, v[98:99], v[102:103] offset1:60
	ds_store_2addr_b64 v0, v[92:93], v[100:101] offset0:120 offset1:180
	v_mad_u16 v92, 0x168, v161, v162
	v_add_nc_u32_e32 v1, 0x400, v0
	s_delay_alu instid0(VALU_DEP_2)
	v_and_b32_e32 v92, 0xffff, v92
	scratch_store_b32 off, v1, off offset:392 ; 4-byte Folded Spill
	ds_store_2addr_b64 v1, v[94:95], v[96:97] offset0:112 offset1:172
	v_lshlrev_b32_e32 v0, 3, v92
	ds_store_2addr_b64 v0, v[86:87], v[90:91] offset1:60
	ds_store_2addr_b64 v0, v[84:85], v[88:89] offset0:120 offset1:180
	scratch_store_b32 off, v0, off offset:436 ; 4-byte Folded Spill
	v_add_nc_u32_e32 v0, 0x400, v0
	scratch_store_b32 off, v0, off offset:428 ; 4-byte Folded Spill
	ds_store_2addr_b64 v0, v[82:83], v[80:81] offset0:112 offset1:172
	s_waitcnt lgkmcnt(0)
	s_waitcnt_vscnt null, 0x0
	s_barrier
	buffer_gl0_inv
	ds_load_2addr_b64 v[108:111], v160 offset1:96
	ds_load_2addr_b64 v[80:83], v146 offset0:64 offset1:160
	ds_load_2addr_b64 v[122:125], v205 offset1:96
	ds_load_2addr_b64 v[104:107], v215 offset0:64 offset1:160
	ds_load_2addr_b64 v[126:129], v142 offset0:64 offset1:160
	;; [unrolled: 1-line block ×6, first 2 shown]
	ds_load_2addr_b64 v[92:95], v143 offset1:96
	ds_load_2addr_b64 v[156:159], v214 offset1:96
	ds_load_2addr_b64 v[88:91], v199 offset0:64 offset1:160
	ds_load_2addr_b64 v[161:164], v202 offset0:64 offset1:160
	ds_load_2addr_b64 v[84:87], v201 offset0:128 offset1:224
	ds_load_2addr_b64 v[112:115], v141 offset0:128 offset1:224
	s_clause 0x3
	global_load_b64 v[246:247], v160, s[6:7] offset:2800
	global_load_b64 v[0:1], v160, s[6:7] offset:3568
	global_load_b64 v[250:251], v160, s[6:7] offset:3760
	global_load_b64 v[252:253], v160, s[6:7] offset:2992
	s_clause 0x2
	scratch_store_b32 off, v197, off offset:268
	scratch_store_b32 off, v198, off offset:272
	;; [unrolled: 1-line block ×3, first 2 shown]
	v_add_nc_u32_e32 v146, 0xc00, v160
	s_waitcnt vmcnt(3) lgkmcnt(13)
	v_mul_f32_e32 v116, v83, v247
	v_mul_f32_e32 v121, v82, v247
	s_waitcnt vmcnt(2) lgkmcnt(12)
	v_mul_f32_e32 v139, v122, v1
	scratch_store_b64 off, v[0:1], off offset:412 ; 8-byte Folded Spill
	v_fma_f32 v120, v82, v246, -v116
	v_mul_f32_e32 v82, v123, v1
	v_fmac_f32_e32 v121, v83, v246
	v_fmac_f32_e32 v139, v123, v0
	s_delay_alu instid0(VALU_DEP_3)
	v_fma_f32 v138, v122, v0, -v82
	v_add_co_u32 v82, vcc_lo, 0x1000, v118
	v_add_co_ci_u32_e32 v83, vcc_lo, 0, v119, vcc_lo
	v_cmp_gt_u16_e64 vcc_lo, 0x48, v145
	s_clause 0x1
	global_load_b64 v[0:1], v[82:83], off offset:240
	global_load_b64 v[248:249], v[82:83], off offset:432
	s_waitcnt vmcnt(1)
	v_mul_f32_e32 v116, v125, v1
	scratch_store_b64 off, v[0:1], off offset:504 ; 8-byte Folded Spill
	v_fma_f32 v165, v124, v0, -v116
	v_add_co_u32 v116, s4, 0xffffffb8, v2
	s_delay_alu instid0(VALU_DEP_1) | instskip(SKIP_1) | instid1(VALU_DEP_3)
	v_add_co_ci_u32_e64 v117, null, 0, -1, s4
	v_mul_f32_e32 v124, v124, v1
	v_cndmask_b32_e32 v116, v116, v150, vcc_lo
	v_and_b32_e32 v150, 0xffff, v155
	s_delay_alu instid0(VALU_DEP_4) | instskip(NEXT) | instid1(VALU_DEP_4)
	v_cndmask_b32_e32 v117, v117, v151, vcc_lo
	v_dual_mov_b32 v1, v167 :: v_dual_fmac_f32 v124, v125, v0
	s_delay_alu instid0(VALU_DEP_3) | instskip(NEXT) | instid1(VALU_DEP_3)
	v_mul_u32_u24_e32 v150, 0x2d83, v150
	v_lshlrev_b64 v[122:123], 3, v[116:117]
	s_delay_alu instid0(VALU_DEP_1) | instskip(NEXT) | instid1(VALU_DEP_2)
	v_add_co_u32 v122, vcc_lo, s6, v122
	v_add_co_ci_u32_e32 v123, vcc_lo, s7, v123, vcc_lo
	v_cmp_lt_u16_e64 vcc_lo, 0x47, v145
	global_load_b64 v[254:255], v[122:123], off offset:2800
	s_waitcnt vmcnt(0) lgkmcnt(10)
	v_mul_f32_e32 v117, v127, v255
	v_mul_f32_e32 v123, v126, v255
	s_delay_alu instid0(VALU_DEP_2) | instskip(SKIP_1) | instid1(VALU_DEP_3)
	v_fma_f32 v122, v126, v254, -v117
	v_mul_f32_e32 v117, v129, v253
	v_dual_fmac_f32 v123, v127, v254 :: v_dual_mul_f32 v126, v128, v253
	s_delay_alu instid0(VALU_DEP_3) | instskip(NEXT) | instid1(VALU_DEP_3)
	v_sub_f32_e32 v122, v106, v122
	v_fma_f32 v125, v128, v252, -v117
	s_waitcnt lgkmcnt(8)
	s_delay_alu instid0(VALU_DEP_3) | instskip(SKIP_3) | instid1(VALU_DEP_4)
	v_dual_mul_f32 v117, v131, v251 :: v_dual_fmac_f32 v126, v129, v252
	v_mul_f32_e32 v128, v130, v251
	v_sub_f32_e32 v123, v107, v123
	v_fma_f32 v106, v106, 2.0, -v122
	v_fma_f32 v127, v130, v250, -v117
	s_delay_alu instid0(VALU_DEP_4) | instskip(SKIP_2) | instid1(VALU_DEP_3)
	v_dual_mul_f32 v117, v133, v249 :: v_dual_fmac_f32 v128, v131, v250
	v_mul_f32_e32 v130, v132, v249
	v_fma_f32 v107, v107, 2.0, -v123
	v_fma_f32 v129, v132, v248, -v117
	s_delay_alu instid0(VALU_DEP_3) | instskip(SKIP_1) | instid1(VALU_DEP_2)
	v_dual_fmac_f32 v130, v133, v248 :: v_dual_and_b32 v117, 0xffff, v147
	v_mul_u32_u24_e32 v133, 0x2d83, v197
	v_mul_u32_u24_e32 v117, 0x2d83, v117
	s_delay_alu instid0(VALU_DEP_2) | instskip(NEXT) | instid1(VALU_DEP_2)
	v_lshrrev_b32_e32 v133, 22, v133
	v_lshrrev_b32_e32 v117, 22, v117
	s_delay_alu instid0(VALU_DEP_2) | instskip(NEXT) | instid1(VALU_DEP_2)
	v_mul_lo_u16 v133, 0x168, v133
	v_mul_lo_u16 v131, 0x168, v117
	s_delay_alu instid0(VALU_DEP_2) | instskip(NEXT) | instid1(VALU_DEP_2)
	v_sub_nc_u16 v133, v197, v133
	v_sub_nc_u16 v166, v147, v131
	s_delay_alu instid0(VALU_DEP_2) | instskip(NEXT) | instid1(VALU_DEP_2)
	v_and_b32_e32 v133, 0xffff, v133
	v_and_b32_e32 v131, 0xffff, v166
	s_delay_alu instid0(VALU_DEP_2) | instskip(NEXT) | instid1(VALU_DEP_2)
	v_lshlrev_b32_e32 v3, 3, v133
	v_lshlrev_b32_e32 v131, 3, v131
	s_clause 0x1
	global_load_b64 v[238:239], v3, s[6:7] offset:2800
	global_load_b64 v[244:245], v131, s[6:7] offset:2800
	s_waitcnt vmcnt(0) lgkmcnt(6)
	v_dual_mul_f32 v133, v137, v239 :: v_dual_mul_f32 v132, v134, v245
	v_mul_f32_e32 v131, v135, v245
	s_delay_alu instid0(VALU_DEP_2) | instskip(NEXT) | instid1(VALU_DEP_3)
	v_fma_f32 v133, v136, v238, -v133
	v_dual_fmac_f32 v132, v135, v244 :: v_dual_and_b32 v135, 0xffff, v149
	s_delay_alu instid0(VALU_DEP_3) | instskip(SKIP_1) | instid1(VALU_DEP_3)
	v_fma_f32 v131, v134, v244, -v131
	v_mul_f32_e32 v134, v136, v239
	v_mul_u32_u24_e32 v135, 0x2d83, v135
	s_delay_alu instid0(VALU_DEP_2) | instskip(NEXT) | instid1(VALU_DEP_2)
	v_dual_fmac_f32 v134, v137, v238 :: v_dual_and_b32 v137, 0xffff, v153
	v_lshrrev_b32_e32 v135, 22, v135
	s_delay_alu instid0(VALU_DEP_2) | instskip(NEXT) | instid1(VALU_DEP_2)
	v_mul_u32_u24_e32 v137, 0x2d83, v137
	v_mul_lo_u16 v135, 0x168, v135
	s_delay_alu instid0(VALU_DEP_2) | instskip(NEXT) | instid1(VALU_DEP_2)
	v_lshrrev_b32_e32 v137, 22, v137
	v_sub_nc_u16 v135, v149, v135
	s_delay_alu instid0(VALU_DEP_2) | instskip(NEXT) | instid1(VALU_DEP_2)
	v_mul_lo_u16 v137, 0x168, v137
	v_and_b32_e32 v135, 0xffff, v135
	s_delay_alu instid0(VALU_DEP_2) | instskip(SKIP_1) | instid1(VALU_DEP_3)
	v_sub_nc_u16 v137, v153, v137
	v_mul_u32_u24_e32 v153, 0x2d83, v198
	v_lshlrev_b32_e32 v168, 3, v135
	s_delay_alu instid0(VALU_DEP_3) | instskip(NEXT) | instid1(VALU_DEP_3)
	v_and_b32_e32 v137, 0xffff, v137
	v_lshrrev_b32_e32 v153, 22, v153
	global_load_b64 v[236:237], v168, s[6:7] offset:2800
	v_lshlrev_b32_e32 v169, 3, v137
	v_mul_lo_u16 v153, 0x168, v153
	global_load_b64 v[234:235], v169, s[6:7] offset:2800
	v_sub_nc_u16 v153, v198, v153
	s_delay_alu instid0(VALU_DEP_1) | instskip(SKIP_3) | instid1(VALU_DEP_2)
	v_and_b32_e32 v153, 0xffff, v153
	s_waitcnt vmcnt(1) lgkmcnt(4)
	v_mul_f32_e32 v135, v157, v237
	v_mul_f32_e32 v136, v156, v237
	v_fma_f32 v135, v156, v236, -v135
	v_lshrrev_b32_e32 v156, 22, v150
	s_delay_alu instid0(VALU_DEP_3) | instskip(NEXT) | instid1(VALU_DEP_2)
	v_fmac_f32_e32 v136, v157, v236
	v_mul_lo_u16 v150, 0x168, v156
	s_delay_alu instid0(VALU_DEP_1) | instskip(NEXT) | instid1(VALU_DEP_1)
	v_sub_nc_u16 v155, v155, v150
	v_and_b32_e32 v150, 0xffff, v155
	s_delay_alu instid0(VALU_DEP_1) | instskip(SKIP_4) | instid1(VALU_DEP_2)
	v_lshlrev_b32_e32 v150, 3, v150
	global_load_b64 v[232:233], v150, s[6:7] offset:2800
	s_waitcnt vmcnt(1)
	v_mul_f32_e32 v137, v159, v235
	v_mul_f32_e32 v149, v158, v235
	v_fma_f32 v137, v158, v234, -v137
	s_delay_alu instid0(VALU_DEP_2) | instskip(NEXT) | instid1(VALU_DEP_1)
	v_dual_fmac_f32 v149, v159, v234 :: v_dual_and_b32 v158, 0xffff, v152
	v_mul_u32_u24_e32 v158, 0x2d83, v158
	s_delay_alu instid0(VALU_DEP_1) | instskip(NEXT) | instid1(VALU_DEP_1)
	v_lshrrev_b32_e32 v158, 22, v158
	v_mul_lo_u16 v158, 0x168, v158
	s_delay_alu instid0(VALU_DEP_1) | instskip(NEXT) | instid1(VALU_DEP_1)
	v_sub_nc_u16 v152, v152, v158
	v_and_b32_e32 v152, 0xffff, v152
	s_waitcnt vmcnt(0) lgkmcnt(2)
	v_mul_f32_e32 v150, v162, v233
	v_mul_f32_e32 v151, v161, v233
	s_delay_alu instid0(VALU_DEP_2) | instskip(NEXT) | instid1(VALU_DEP_2)
	v_fma_f32 v150, v161, v232, -v150
	v_fmac_f32_e32 v151, v162, v232
	v_lshlrev_b32_e32 v161, 3, v153
	v_lshlrev_b32_e32 v162, 3, v152
	s_clause 0x1
	global_load_b64 v[230:231], v161, s[6:7] offset:2800
	global_load_b64 v[209:210], v162, s[6:7] offset:2800
	s_waitcnt vmcnt(0) lgkmcnt(0)
	v_dual_mul_f32 v153, v164, v231 :: v_dual_mul_f32 v152, v113, v210
	v_dual_mul_f32 v158, v112, v210 :: v_dual_mul_f32 v157, v163, v231
	s_delay_alu instid0(VALU_DEP_2) | instskip(NEXT) | instid1(VALU_DEP_3)
	v_fma_f32 v153, v163, v230, -v153
	v_fma_f32 v152, v112, v209, -v152
	v_and_b32_e32 v112, 0xffff, v154
	s_delay_alu instid0(VALU_DEP_4) | instskip(SKIP_2) | instid1(VALU_DEP_4)
	v_fmac_f32_e32 v158, v113, v209
	v_sub_f32_e32 v113, v109, v121
	v_dual_sub_f32 v121, v105, v124 :: v_dual_sub_f32 v124, v100, v125
	v_mul_u32_u24_e32 v112, 0x2d83, v112
	v_sub_f32_e32 v125, v101, v126
	s_delay_alu instid0(VALU_DEP_4) | instskip(NEXT) | instid1(VALU_DEP_4)
	v_fma_f32 v109, v109, 2.0, -v113
	v_fma_f32 v105, v105, 2.0, -v121
	v_sub_f32_e32 v126, v102, v127
	v_lshrrev_b32_e32 v112, 22, v112
	v_dual_sub_f32 v127, v103, v128 :: v_dual_sub_f32 v128, v96, v129
	v_sub_f32_e32 v129, v97, v130
	v_fma_f32 v100, v100, 2.0, -v124
	s_delay_alu instid0(VALU_DEP_4)
	v_mul_lo_u16 v112, 0x168, v112
	v_fma_f32 v101, v101, 2.0, -v125
	v_fma_f32 v102, v102, 2.0, -v126
	;; [unrolled: 1-line block ×4, first 2 shown]
	v_sub_nc_u16 v112, v154, v112
	v_fma_f32 v97, v97, 2.0, -v129
	v_dual_sub_f32 v130, v98, v131 :: v_dual_sub_f32 v131, v99, v132
	v_sub_f32_e32 v132, v92, v133
	s_delay_alu instid0(VALU_DEP_4) | instskip(SKIP_1) | instid1(VALU_DEP_2)
	v_dual_sub_f32 v133, v93, v134 :: v_dual_and_b32 v112, 0xffff, v112
	v_dual_sub_f32 v134, v94, v135 :: v_dual_sub_f32 v135, v95, v136
	v_dual_sub_f32 v136, v88, v137 :: v_dual_lshlrev_b32 v163, 3, v112
	v_sub_f32_e32 v137, v89, v149
	v_fma_f32 v98, v98, 2.0, -v130
	v_fma_f32 v99, v99, 2.0, -v131
	;; [unrolled: 1-line block ×3, first 2 shown]
	global_load_b64 v[203:204], v163, s[6:7] offset:2800
	s_waitcnt vmcnt(0)
	s_waitcnt_vscnt null, 0x0
	s_barrier
	buffer_gl0_inv
	v_fma_f32 v93, v93, 2.0, -v133
	v_fma_f32 v94, v94, 2.0, -v134
	;; [unrolled: 1-line block ×5, first 2 shown]
	v_fmac_f32_e32 v157, v164, v230
	v_sub_f32_e32 v149, v84, v153
	s_delay_alu instid0(VALU_DEP_1) | instskip(SKIP_2) | instid1(VALU_DEP_2)
	v_fma_f32 v84, v84, 2.0, -v149
	v_mul_f32_e32 v112, v115, v204
	v_mul_f32_e32 v159, v114, v204
	v_fma_f32 v154, v114, v203, -v112
	s_delay_alu instid0(VALU_DEP_2) | instskip(SKIP_3) | instid1(VALU_DEP_4)
	v_dual_fmac_f32 v159, v115, v203 :: v_dual_sub_f32 v112, v108, v120
	v_dual_sub_f32 v114, v110, v138 :: v_dual_sub_f32 v115, v111, v139
	v_sub_f32_e32 v120, v104, v165
	v_sub_f32_e32 v138, v90, v150
	v_fma_f32 v108, v108, 2.0, -v112
	s_delay_alu instid0(VALU_DEP_4)
	v_fma_f32 v110, v110, 2.0, -v114
	v_fma_f32 v111, v111, 2.0, -v115
	;; [unrolled: 1-line block ×3, first 2 shown]
	ds_store_b64 v160, v[112:113] offset:2880
	ds_store_2addr_b64 v160, v[108:109], v[110:111] offset1:96
	ds_store_b64 v160, v[104:105] offset:1536
	v_cndmask_b32_e64 v104, 0, 0x2d0, vcc_lo
	ds_store_2addr_b64 v146, v[114:115], v[120:121] offset0:72 offset1:168
	v_dual_sub_f32 v139, v91, v151 :: v_dual_sub_f32 v150, v85, v157
	v_sub_f32_e32 v151, v86, v152
	v_add_lshl_u32 v0, v116, v104, 3
	v_sub_f32_e32 v152, v87, v158
	v_dual_sub_f32 v153, v80, v154 :: v_dual_sub_f32 v154, v81, v159
	v_fma_f32 v90, v90, 2.0, -v138
	scratch_store_b32 off, v0, off offset:496 ; 4-byte Folded Spill
	ds_store_b64 v0, v[106:107]
	ds_store_b64 v0, v[122:123] offset:2880
	ds_store_2addr_b64 v200, v[100:101], v[102:103] offset0:104 offset1:200
	ds_store_2addr_b64 v199, v[96:97], v[124:125] offset0:40 offset1:208
	v_mad_u16 v96, 0x2d0, v117, v166
	ds_store_2addr_b64 v167, v[126:127], v[128:129] offset0:48 offset1:144
	v_fma_f32 v91, v91, 2.0, -v139
	v_fma_f32 v85, v85, 2.0, -v150
	;; [unrolled: 1-line block ×3, first 2 shown]
	v_and_b32_e32 v96, 0xffff, v96
	v_fma_f32 v87, v87, 2.0, -v152
	v_fma_f32 v80, v80, 2.0, -v153
	;; [unrolled: 1-line block ×3, first 2 shown]
	s_delay_alu instid0(VALU_DEP_4)
	v_dual_mov_b32 v167, v199 :: v_dual_lshlrev_b32 v96, 3, v96
	scratch_store_b32 off, v96, off offset:472 ; 4-byte Folded Spill
	ds_store_b64 v96, v[98:99]
	ds_store_b64 v96, v[130:131] offset:2880
	scratch_store_b32 off, v3, off offset:460 ; 4-byte Folded Spill
	ds_store_b64 v3, v[92:93] offset:11520
	ds_store_b64 v3, v[132:133] offset:14400
	scratch_store_b32 off, v168, off offset:464 ; 4-byte Folded Spill
	ds_store_b64 v168, v[94:95] offset:11520
	;; [unrolled: 3-line block ×3, first 2 shown]
	ds_store_b64 v169, v[136:137] offset:14400
	v_mad_u16 v88, 0x2d0, v156, v155
	s_delay_alu instid0(VALU_DEP_1) | instskip(NEXT) | instid1(VALU_DEP_1)
	v_and_b32_e32 v88, 0xffff, v88
	v_lshlrev_b32_e32 v3, 3, v88
	scratch_store_b32 off, v3, off offset:488 ; 4-byte Folded Spill
	ds_store_b64 v3, v[90:91]
	ds_store_b64 v3, v[138:139] offset:2880
	scratch_store_b32 off, v161, off offset:476 ; 4-byte Folded Spill
	ds_store_b64 v161, v[84:85] offset:17280
	ds_store_b64 v161, v[149:150] offset:20160
	scratch_store_b32 off, v162, off offset:480 ; 4-byte Folded Spill
	ds_store_b64 v162, v[86:87] offset:17280
	;; [unrolled: 3-line block ×3, first 2 shown]
	ds_store_b64 v163, v[153:154] offset:20160
	s_waitcnt lgkmcnt(0)
	s_waitcnt_vscnt null, 0x0
	s_barrier
	buffer_gl0_inv
	ds_load_2addr_b64 v[84:87], v160 offset1:96
	ds_load_2addr_b64 v[88:91], v170 offset0:64 offset1:160
	ds_load_2addr_b64 v[92:95], v205 offset1:96
	ds_load_2addr_b64 v[96:99], v215 offset0:64 offset1:160
	ds_load_2addr_b64 v[100:103], v142 offset0:64 offset1:160
	;; [unrolled: 1-line block ×6, first 2 shown]
	ds_load_2addr_b64 v[124:127], v143 offset1:96
	ds_load_2addr_b64 v[128:131], v214 offset1:96
	ds_load_2addr_b64 v[132:135], v199 offset0:64 offset1:160
	ds_load_2addr_b64 v[136:139], v202 offset0:64 offset1:160
	ds_load_2addr_b64 v[149:152], v201 offset0:128 offset1:224
	ds_load_2addr_b64 v[153:156], v141 offset0:128 offset1:224
	s_clause 0x6
	global_load_b64 v[228:229], v[82:83], off offset:1584
	global_load_b64 v[216:217], v[82:83], off offset:2352
	;; [unrolled: 1-line block ×7, first 2 shown]
	s_waitcnt vmcnt(6) lgkmcnt(13)
	v_dual_mov_b32 v3, v170 :: v_dual_mul_f32 v80, v91, v229
	s_waitcnt vmcnt(5) lgkmcnt(12)
	v_mul_f32_e32 v158, v92, v217
	v_mul_f32_e32 v117, v90, v229
	s_waitcnt vmcnt(2) lgkmcnt(10)
	v_mul_f32_e32 v161, v100, v223
	v_fma_f32 v116, v90, v228, -v80
	v_mul_f32_e32 v80, v93, v217
	v_fmac_f32_e32 v158, v93, v216
	v_fmac_f32_e32 v117, v91, v228
	;; [unrolled: 1-line block ×3, first 2 shown]
	s_delay_alu instid0(VALU_DEP_4) | instskip(SKIP_1) | instid1(VALU_DEP_1)
	v_fma_f32 v157, v92, v216, -v80
	v_mul_f32_e32 v80, v95, v243
	v_fma_f32 v93, v94, v242, -v80
	v_mul_f32_e32 v80, v101, v223
	v_dual_mul_f32 v94, v94, v243 :: v_dual_sub_f32 v101, v99, v161
	s_delay_alu instid0(VALU_DEP_3) | instskip(NEXT) | instid1(VALU_DEP_3)
	v_sub_f32_e32 v93, v96, v93
	v_fma_f32 v159, v100, v222, -v80
	v_add_co_u32 v80, vcc_lo, 0x2000, v118
	v_add_co_ci_u32_e32 v81, vcc_lo, 0, v119, vcc_lo
	v_cmp_gt_u16_e64 vcc_lo, 48, v145
	v_fmac_f32_e32 v94, v95, v242
	v_sub_f32_e32 v100, v98, v159
	s_clause 0x6
	global_load_b64 v[218:219], v[80:81], off offset:560
	global_load_b64 v[197:198], v[80:81], off offset:944
	;; [unrolled: 1-line block ×7, first 2 shown]
	s_waitcnt vmcnt(8) lgkmcnt(4)
	v_dual_mul_f32 v82, v131, v208 :: v_dual_sub_f32 v83, v85, v117
	v_sub_f32_e32 v94, v97, v94
	v_fma_f32 v95, v96, 2.0, -v93
	v_mov_b32_e32 v159, v171
	s_delay_alu instid0(VALU_DEP_4) | instskip(NEXT) | instid1(VALU_DEP_4)
	v_fma_f32 v85, v85, 2.0, -v83
	v_fma_f32 v96, v97, 2.0, -v94
	;; [unrolled: 1-line block ×4, first 2 shown]
	s_waitcnt vmcnt(6)
	v_mul_f32_e32 v90, v103, v219
	v_mul_f32_e32 v163, v102, v219
	s_waitcnt vmcnt(3)
	v_dual_mul_f32 v165, v108, v225 :: v_dual_mul_f32 v168, v110, v227
	s_delay_alu instid0(VALU_DEP_3) | instskip(SKIP_1) | instid1(VALU_DEP_3)
	v_fma_f32 v162, v102, v218, -v90
	v_mul_f32_e32 v90, v109, v225
	v_fmac_f32_e32 v165, v109, v224
	v_fmac_f32_e32 v163, v103, v218
	;; [unrolled: 1-line block ×3, first 2 shown]
	v_sub_f32_e32 v102, v104, v162
	v_fma_f32 v164, v108, v224, -v90
	v_mul_f32_e32 v90, v111, v227
	v_sub_f32_e32 v103, v105, v163
	v_sub_f32_e32 v109, v107, v165
	v_sub_f32_e32 v111, v113, v168
	v_sub_f32_e32 v108, v106, v164
	v_fma_f32 v166, v110, v226, -v90
	v_add_co_u32 v90, s4, 0xffffffd0, v2
	s_delay_alu instid0(VALU_DEP_1) | instskip(NEXT) | instid1(VALU_DEP_3)
	v_add_co_ci_u32_e64 v91, null, 0, -1, s4
	v_sub_f32_e32 v110, v112, v166
	s_delay_alu instid0(VALU_DEP_3) | instskip(SKIP_1) | instid1(VALU_DEP_4)
	v_cndmask_b32_e32 v90, v90, v147, vcc_lo
	v_fma_f32 v104, v104, 2.0, -v102
	v_cndmask_b32_e32 v91, v91, v148, vcc_lo
	v_fma_f32 v105, v105, 2.0, -v103
	v_fma_f32 v106, v106, 2.0, -v108
	;; [unrolled: 1-line block ×4, first 2 shown]
	v_lshlrev_b64 v[91:92], 3, v[90:91]
	v_fma_f32 v113, v113, 2.0, -v111
	v_mov_b32_e32 v2, v3
	s_delay_alu instid0(VALU_DEP_3) | instskip(NEXT) | instid1(VALU_DEP_4)
	v_add_co_u32 v91, vcc_lo, s6, v91
	v_add_co_ci_u32_e32 v92, vcc_lo, s7, v92, vcc_lo
	s_mul_i32 s6, s1, 0x1200
	s_delay_alu instid0(VALU_DEP_2) | instskip(NEXT) | instid1(VALU_DEP_2)
	v_add_co_u32 v91, vcc_lo, 0x1000, v91
	v_add_co_ci_u32_e32 v92, vcc_lo, 0, v92, vcc_lo
	v_cmp_lt_u16_e64 vcc_lo, 47, v145
	s_mul_hi_u32 s7, s0, 0x1200
	global_load_b64 v[240:241], v[91:92], off offset:1584
	v_sub_f32_e32 v92, v87, v158
	s_waitcnt vmcnt(0) lgkmcnt(0)
	s_barrier
	buffer_gl0_inv
	v_mov_b32_e32 v158, v172
	v_fma_f32 v87, v87, 2.0, -v92
	s_add_i32 s6, s7, s6
	s_mul_i32 s7, s0, 0x1200
	v_mul_f32_e32 v91, v121, v241
	s_delay_alu instid0(VALU_DEP_1) | instskip(SKIP_1) | instid1(VALU_DEP_1)
	v_fma_f32 v147, v120, v240, -v91
	v_mul_f32_e32 v120, v120, v241
	v_dual_mul_f32 v91, v123, v221 :: v_dual_fmac_f32 v120, v121, v240
	s_delay_alu instid0(VALU_DEP_1) | instskip(SKIP_1) | instid1(VALU_DEP_2)
	v_fma_f32 v121, v122, v220, -v91
	v_dual_mul_f32 v91, v129, v202 :: v_dual_mul_f32 v122, v122, v221
	v_dual_sub_f32 v117, v115, v120 :: v_dual_sub_f32 v120, v124, v121
	s_delay_alu instid0(VALU_DEP_2) | instskip(SKIP_1) | instid1(VALU_DEP_4)
	v_fma_f32 v148, v128, v201, -v91
	v_mul_f32_e32 v128, v128, v202
	v_dual_fmac_f32 v122, v123, v220 :: v_dual_sub_f32 v91, v86, v157
	s_delay_alu instid0(VALU_DEP_4) | instskip(SKIP_1) | instid1(VALU_DEP_4)
	v_fma_f32 v115, v115, 2.0, -v117
	v_mov_b32_e32 v157, v205
	v_fmac_f32_e32 v128, v129, v201
	v_fma_f32 v129, v130, v207, -v82
	v_mul_f32_e32 v82, v137, v212
	v_dual_mul_f32 v130, v130, v208 :: v_dual_sub_f32 v121, v125, v122
	v_fma_f32 v86, v86, 2.0, -v91
	v_fma_f32 v122, v124, 2.0, -v120
	s_delay_alu instid0(VALU_DEP_4) | instskip(SKIP_4) | instid1(VALU_DEP_4)
	v_fma_f32 v169, v136, v211, -v82
	v_mul_f32_e32 v136, v136, v212
	v_mul_f32_e32 v82, v139, v198
	v_fmac_f32_e32 v130, v131, v207
	v_fma_f32 v123, v125, 2.0, -v121
	v_dual_sub_f32 v125, v127, v128 :: v_dual_fmac_f32 v136, v137, v211
	s_delay_alu instid0(VALU_DEP_4) | instskip(SKIP_4) | instid1(VALU_DEP_4)
	v_fma_f32 v137, v138, v197, -v82
	v_mul_f32_e32 v82, v154, v191
	v_mul_f32_e32 v138, v138, v198
	v_dual_sub_f32 v128, v132, v129 :: v_dual_sub_f32 v129, v133, v130
	v_sub_f32_e32 v124, v126, v148
	v_fma_f32 v170, v153, v190, -v82
	v_dual_mul_f32 v153, v153, v191 :: v_dual_mul_f32 v82, v156, v189
	v_fmac_f32_e32 v138, v139, v197
	v_fma_f32 v131, v133, 2.0, -v129
	v_sub_f32_e32 v133, v135, v136
	s_delay_alu instid0(VALU_DEP_4) | instskip(SKIP_4) | instid1(VALU_DEP_3)
	v_fmac_f32_e32 v153, v154, v190
	v_fma_f32 v154, v155, v188, -v82
	v_dual_sub_f32 v82, v84, v116 :: v_dual_mul_f32 v155, v155, v189
	v_sub_f32_e32 v116, v114, v147
	v_dual_sub_f32 v136, v149, v137 :: v_dual_sub_f32 v137, v150, v138
	v_fma_f32 v84, v84, 2.0, -v82
	ds_store_b64 v160, v[82:83] offset:5760
	ds_store_2addr_b64 v160, v[84:85], v[86:87] offset1:96
	ds_store_2addr_b64 v143, v[91:92], v[93:94] offset0:48 offset1:144
	ds_store_2addr_b64 v215, v[95:96], v[97:98] offset0:64 offset1:160
	;; [unrolled: 1-line block ×4, first 2 shown]
	ds_store_b64 v160, v[112:113] offset:4608
	ds_store_2addr_b64 v1, v[108:109], v[110:111] offset0:48 offset1:144
	v_cndmask_b32_e64 v82, 0, 0x5a0, vcc_lo
	v_fmac_f32_e32 v155, v156, v188
	v_dual_sub_f32 v147, v151, v170 :: v_dual_sub_f32 v148, v152, v153
	v_fma_f32 v114, v114, 2.0, -v116
	s_delay_alu instid0(VALU_DEP_4)
	v_add_lshl_u32 v0, v90, v82, 3
	v_fma_f32 v130, v132, 2.0, -v128
	v_sub_f32_e32 v132, v134, v169
	v_fma_f32 v138, v149, 2.0, -v136
	v_fma_f32 v139, v150, 2.0, -v137
	v_fma_f32 v149, v151, 2.0, -v147
	v_fma_f32 v150, v152, 2.0, -v148
	v_dual_sub_f32 v151, v88, v154 :: v_dual_sub_f32 v152, v89, v155
	v_fma_f32 v126, v126, 2.0, -v124
	v_fma_f32 v127, v127, 2.0, -v125
	scratch_store_b32 off, v0, off offset:500 ; 4-byte Folded Spill
	ds_store_b64 v0, v[114:115]
	ds_store_b64 v0, v[116:117] offset:5760
	v_add_nc_u32_e32 v0, 0x2c00, v160
	v_fma_f32 v134, v134, 2.0, -v132
	v_fma_f32 v135, v135, 2.0, -v133
	;; [unrolled: 1-line block ×4, first 2 shown]
	ds_store_2addr_b64 v0, v[122:123], v[126:127] offset0:80 offset1:176
	ds_store_2addr_b64 v214, v[124:125], v[128:129] offset1:96
	ds_store_2addr_b64 v205, v[130:131], v[134:135] offset0:144 offset1:240
	ds_store_2addr_b64 v172, v[132:133], v[136:137] offset0:64 offset1:160
	ds_store_2addr_b64 v213, v[138:139], v[149:150] offset0:80 offset1:176
	ds_store_2addr_b64 v206, v[88:89], v[120:121] offset0:16 offset1:160
	ds_store_2addr_b64 v141, v[147:148], v[151:152] offset0:128 offset1:224
	s_waitcnt lgkmcnt(0)
	s_waitcnt_vscnt null, 0x0
	s_barrier
	buffer_gl0_inv
	ds_load_2addr_b64 v[82:85], v160 offset1:96
	ds_load_2addr_b64 v[86:89], v3 offset0:64 offset1:160
	ds_load_2addr_b64 v[90:93], v205 offset1:96
	ds_load_2addr_b64 v[94:97], v215 offset0:64 offset1:160
	v_mov_b32_e32 v3, v215
	ds_load_2addr_b64 v[98:101], v142 offset0:64 offset1:160
	ds_load_2addr_b64 v[102:105], v140 offset0:128 offset1:224
	;; [unrolled: 1-line block ×5, first 2 shown]
	ds_load_2addr_b64 v[120:123], v143 offset1:96
	ds_load_2addr_b64 v[124:127], v214 offset1:96
	v_mov_b32_e32 v215, v214
	ds_load_2addr_b64 v[128:131], v199 offset0:64 offset1:160
	ds_load_2addr_b64 v[132:135], v172 offset0:64 offset1:160
	;; [unrolled: 1-line block ×3, first 2 shown]
	global_load_b64 v[213:214], v[80:81], off offset:3248
	v_mov_b32_e32 v155, v206
	global_load_b64 v[205:206], v[80:81], off offset:4016
	ds_load_2addr_b64 v[147:150], v141 offset0:128 offset1:224
	v_dual_mov_b32 v156, v0 :: v_dual_mov_b32 v199, v143
	s_waitcnt vmcnt(1) lgkmcnt(13)
	v_mul_f32_e32 v145, v89, v214
	s_waitcnt vmcnt(0) lgkmcnt(12)
	v_mul_f32_e32 v80, v91, v206
	s_delay_alu instid0(VALU_DEP_2) | instskip(SKIP_1) | instid1(VALU_DEP_1)
	v_fma_f32 v145, v88, v213, -v145
	v_mul_f32_e32 v88, v88, v214
	v_fmac_f32_e32 v88, v89, v213
	s_delay_alu instid0(VALU_DEP_4)
	v_fma_f32 v89, v90, v205, -v80
	v_add_co_u32 v80, vcc_lo, 0x3000, v118
	v_add_co_ci_u32_e32 v81, vcc_lo, 0, v119, vcc_lo
	v_mul_f32_e32 v90, v90, v206
	s_clause 0x4
	global_load_b64 v[186:187], v[80:81], off offset:688
	global_load_b64 v[184:185], v[80:81], off offset:1456
	;; [unrolled: 1-line block ×5, first 2 shown]
	s_waitcnt vmcnt(4)
	v_dual_fmac_f32 v90, v91, v205 :: v_dual_mul_f32 v91, v93, v187
	s_waitcnt vmcnt(0) lgkmcnt(8)
	v_mul_f32_e32 v80, v109, v179
	s_delay_alu instid0(VALU_DEP_2) | instskip(SKIP_1) | instid1(VALU_DEP_1)
	v_fma_f32 v91, v92, v186, -v91
	v_mul_f32_e32 v92, v92, v187
	v_dual_fmac_f32 v92, v93, v186 :: v_dual_mul_f32 v93, v99, v185
	s_delay_alu instid0(VALU_DEP_1) | instskip(SKIP_1) | instid1(VALU_DEP_1)
	v_fma_f32 v151, v98, v184, -v93
	v_mul_f32_e32 v98, v98, v185
	v_dual_mul_f32 v93, v101, v181 :: v_dual_fmac_f32 v98, v99, v184
	s_delay_alu instid0(VALU_DEP_1) | instskip(SKIP_1) | instid1(VALU_DEP_1)
	v_fma_f32 v99, v100, v180, -v93
	v_dual_mul_f32 v93, v107, v183 :: v_dual_mul_f32 v100, v100, v181
	v_fma_f32 v152, v106, v182, -v93
	v_mul_f32_e32 v106, v106, v183
	s_delay_alu instid0(VALU_DEP_3) | instskip(NEXT) | instid1(VALU_DEP_2)
	v_fmac_f32_e32 v100, v101, v180
	v_fmac_f32_e32 v106, v107, v182
	v_fma_f32 v107, v108, v178, -v80
	v_add_co_u32 v80, vcc_lo, 0x4000, v118
	v_add_co_ci_u32_e32 v81, vcc_lo, 0, v119, vcc_lo
	v_mul_f32_e32 v108, v108, v179
	s_clause 0x4
	global_load_b64 v[176:177], v[80:81], off offset:432
	global_load_b64 v[172:173], v[80:81], off offset:1200
	;; [unrolled: 1-line block ×5, first 2 shown]
	s_waitcnt vmcnt(4) lgkmcnt(6)
	v_dual_fmac_f32 v108, v109, v178 :: v_dual_mul_f32 v93, v115, v177
	s_waitcnt vmcnt(0) lgkmcnt(2)
	v_mul_f32_e32 v80, v133, v175
	s_delay_alu instid0(VALU_DEP_2) | instskip(SKIP_1) | instid1(VALU_DEP_1)
	v_fma_f32 v153, v114, v176, -v93
	v_mul_f32_e32 v114, v114, v177
	v_dual_mul_f32 v93, v117, v173 :: v_dual_fmac_f32 v114, v115, v176
	s_delay_alu instid0(VALU_DEP_1) | instskip(SKIP_2) | instid1(VALU_DEP_2)
	v_fma_f32 v115, v116, v172, -v93
	v_mul_f32_e32 v93, v125, v169
	v_mul_f32_e32 v116, v116, v173
	v_fma_f32 v154, v124, v168, -v93
	v_dual_mul_f32 v124, v124, v169 :: v_dual_mul_f32 v93, v127, v171
	s_delay_alu instid0(VALU_DEP_3) | instskip(NEXT) | instid1(VALU_DEP_2)
	v_fmac_f32_e32 v116, v117, v172
	v_fmac_f32_e32 v124, v125, v168
	s_delay_alu instid0(VALU_DEP_3) | instskip(SKIP_1) | instid1(VALU_DEP_1)
	v_fma_f32 v125, v126, v170, -v93
	v_mul_f32_e32 v126, v126, v171
	v_fmac_f32_e32 v126, v127, v170
	v_fma_f32 v127, v132, v174, -v80
	v_add_co_u32 v80, vcc_lo, 0x5000, v118
	v_add_co_ci_u32_e32 v81, vcc_lo, 0, v119, vcc_lo
	v_mul_f32_e32 v132, v132, v175
	v_dual_sub_f32 v118, v122, v154 :: v_dual_sub_f32 v119, v123, v124
	s_clause 0x2
	global_load_b64 v[165:166], v[80:81], off offset:176
	global_load_b64 v[163:164], v[80:81], off offset:944
	;; [unrolled: 1-line block ×3, first 2 shown]
	v_dual_fmac_f32 v132, v133, v174 :: v_dual_sub_f32 v81, v83, v88
	v_dual_sub_f32 v88, v84, v89 :: v_dual_sub_f32 v89, v85, v90
	v_dual_sub_f32 v90, v94, v91 :: v_dual_sub_f32 v91, v95, v92
	s_delay_alu instid0(VALU_DEP_3) | instskip(NEXT) | instid1(VALU_DEP_3)
	v_fma_f32 v83, v83, 2.0, -v81
	v_fma_f32 v84, v84, 2.0, -v88
	s_delay_alu instid0(VALU_DEP_4) | instskip(NEXT) | instid1(VALU_DEP_4)
	v_fma_f32 v85, v85, 2.0, -v89
	v_fma_f32 v92, v94, 2.0, -v90
	v_sub_f32_e32 v94, v96, v151
	s_delay_alu instid0(VALU_DEP_1) | instskip(SKIP_4) | instid1(VALU_DEP_2)
	v_fma_f32 v96, v96, 2.0, -v94
	s_waitcnt vmcnt(2)
	v_mul_f32_e32 v93, v135, v166
	s_waitcnt vmcnt(0) lgkmcnt(0)
	v_mul_f32_e32 v80, v150, v162
	v_fma_f32 v133, v134, v165, -v93
	v_dual_mul_f32 v134, v134, v166 :: v_dual_mul_f32 v93, v148, v164
	s_delay_alu instid0(VALU_DEP_1) | instskip(NEXT) | instid1(VALU_DEP_2)
	v_fmac_f32_e32 v134, v135, v165
	v_fma_f32 v135, v147, v163, -v93
	v_fma_f32 v93, v95, 2.0, -v91
	v_dual_sub_f32 v95, v97, v98 :: v_dual_sub_f32 v98, v102, v99
	v_sub_f32_e32 v99, v103, v100
	v_mul_f32_e32 v147, v147, v164
	s_delay_alu instid0(VALU_DEP_3) | instskip(NEXT) | instid1(VALU_DEP_4)
	v_fma_f32 v97, v97, 2.0, -v95
	v_fma_f32 v100, v102, 2.0, -v98
	s_delay_alu instid0(VALU_DEP_4)
	v_fma_f32 v101, v103, 2.0, -v99
	v_dual_sub_f32 v103, v105, v106 :: v_dual_sub_f32 v106, v110, v107
	v_sub_f32_e32 v107, v111, v108
	v_fmac_f32_e32 v147, v148, v163
	v_fma_f32 v148, v149, v161, -v80
	v_dual_mul_f32 v149, v149, v162 :: v_dual_sub_f32 v80, v82, v145
	s_delay_alu instid0(VALU_DEP_4) | instskip(SKIP_2) | instid1(VALU_DEP_4)
	v_fma_f32 v109, v111, 2.0, -v107
	v_dual_sub_f32 v111, v113, v114 :: v_dual_sub_f32 v114, v120, v115
	v_sub_f32_e32 v115, v121, v116
	v_dual_fmac_f32 v149, v150, v161 :: v_dual_sub_f32 v102, v104, v152
	v_fma_f32 v108, v110, 2.0, -v106
	s_delay_alu instid0(VALU_DEP_4) | instskip(NEXT) | instid1(VALU_DEP_4)
	v_fma_f32 v116, v120, 2.0, -v114
	v_fma_f32 v117, v121, 2.0, -v115
	;; [unrolled: 1-line block ×4, first 2 shown]
	v_dual_sub_f32 v122, v128, v125 :: v_dual_sub_f32 v123, v129, v126
	v_dual_sub_f32 v126, v130, v127 :: v_dual_sub_f32 v127, v131, v132
	v_sub_f32_e32 v110, v112, v153
	s_delay_alu instid0(VALU_DEP_3) | instskip(NEXT) | instid1(VALU_DEP_4)
	v_fma_f32 v124, v128, 2.0, -v122
	v_fma_f32 v125, v129, 2.0, -v123
	s_delay_alu instid0(VALU_DEP_4)
	v_fma_f32 v128, v130, 2.0, -v126
	v_fma_f32 v129, v131, 2.0, -v127
	v_dual_sub_f32 v130, v136, v133 :: v_dual_sub_f32 v131, v137, v134
	v_sub_f32_e32 v134, v138, v135
	v_sub_f32_e32 v135, v139, v147
	v_fma_f32 v82, v82, 2.0, -v80
	s_delay_alu instid0(VALU_DEP_4)
	v_fma_f32 v132, v136, 2.0, -v130
	v_fma_f32 v133, v137, 2.0, -v131
	;; [unrolled: 1-line block ×4, first 2 shown]
	v_dual_sub_f32 v138, v86, v148 :: v_dual_sub_f32 v139, v87, v149
	v_fma_f32 v104, v104, 2.0, -v102
	v_fma_f32 v105, v105, 2.0, -v103
	;; [unrolled: 1-line block ×6, first 2 shown]
	ds_store_b64 v160, v[80:81] offset:11520
	ds_store_2addr_b64 v160, v[82:83], v[84:85] offset1:96
	ds_store_2addr_b64 v157, v[88:89], v[90:91] offset1:96
	ds_store_2addr_b64 v3, v[92:93], v[96:97] offset0:64 offset1:160
	ds_store_2addr_b64 v142, v[94:95], v[98:99] offset0:64 offset1:160
	;; [unrolled: 1-line block ×6, first 2 shown]
	ds_store_2addr_b64 v143, v[116:117], v[120:121] offset1:96
	ds_store_2addr_b64 v215, v[118:119], v[122:123] offset1:96
	ds_store_2addr_b64 v167, v[124:125], v[128:129] offset0:64 offset1:160
	ds_store_2addr_b64 v158, v[126:127], v[130:131] offset0:64 offset1:160
	;; [unrolled: 1-line block ×3, first 2 shown]
	ds_store_b64 v160, v[86:87] offset:10752
	ds_store_2addr_b64 v141, v[134:135], v[138:139] offset0:128 offset1:224
	s_waitcnt lgkmcnt(0)
	s_barrier
	buffer_gl0_inv
	global_load_b64 v[80:81], v160, s[2:3]
	ds_load_2addr_b64 v[102:105], v160 offset1:96
	v_add_co_u32 v145, s4, s2, v160
	s_delay_alu instid0(VALU_DEP_1)
	v_add_co_ci_u32_e64 v149, null, s3, 0, s4
	scratch_load_b32 v0, off, off offset:276 ; 4-byte Folded Reload
	v_add_co_u32 v130, vcc_lo, 0x1000, v145
	v_add_co_ci_u32_e32 v131, vcc_lo, 0, v149, vcc_lo
	v_add_co_u32 v98, vcc_lo, 0x2000, v145
	v_add_co_ci_u32_e32 v99, vcc_lo, 0, v149, vcc_lo
	;; [unrolled: 2-line block ×3, first 2 shown]
	v_mov_b32_e32 v150, v3
	s_mul_i32 s4, s1, 0x900
	s_delay_alu instid0(SALU_CYCLE_1) | instskip(SKIP_4) | instid1(VALU_DEP_2)
	s_add_i32 s4, s5, s4
	s_mul_i32 s5, s0, 0x900
	s_waitcnt vmcnt(1) lgkmcnt(0)
	v_mul_f32_e32 v82, v103, v81
	v_mul_f32_e32 v83, v102, v81
	v_fma_f32 v82, v102, v80, -v82
	s_delay_alu instid0(VALU_DEP_2)
	v_fmac_f32_e32 v83, v103, v80
	global_load_b64 v[80:81], v160, s[2:3] offset:2304
	ds_store_b64 v160, v[82:83]
	ds_load_2addr_b64 v[106:109], v3 offset0:64 offset1:160
	ds_load_2addr_b64 v[92:95], v143 offset1:96
	ds_load_2addr_b64 v[112:115], v159 offset0:128 offset1:224
	ds_load_2addr_b64 v[88:91], v2 offset0:64 offset1:160
	;; [unrolled: 1-line block ×4, first 2 shown]
	ds_load_2addr_b64 v[120:123], v215 offset1:96
	ds_load_2addr_b64 v[124:127], v140 offset0:128 offset1:224
	s_waitcnt vmcnt(0) lgkmcnt(7)
	v_dual_mov_b32 v3, v155 :: v_dual_mul_f32 v82, v109, v81
	v_mul_f32_e32 v129, v108, v81
	s_delay_alu instid0(VALU_DEP_2) | instskip(NEXT) | instid1(VALU_DEP_2)
	v_fma_f32 v128, v108, v80, -v82
	v_fmac_f32_e32 v129, v109, v80
	global_load_b64 v[80:81], v[130:131], off offset:512
	ds_load_2addr_b64 v[108:111], v144 offset0:64 offset1:160
	s_waitcnt vmcnt(0) lgkmcnt(0)
	v_mul_f32_e32 v82, v109, v81
	v_mul_f32_e32 v103, v108, v81
	s_delay_alu instid0(VALU_DEP_2) | instskip(NEXT) | instid1(VALU_DEP_2)
	v_fma_f32 v102, v108, v80, -v82
	v_fmac_f32_e32 v103, v109, v80
	global_load_b64 v[80:81], v[130:131], off offset:2816
	s_waitcnt vmcnt(0)
	v_mul_f32_e32 v82, v95, v81
	v_mul_f32_e32 v133, v94, v81
	s_delay_alu instid0(VALU_DEP_2) | instskip(NEXT) | instid1(VALU_DEP_2)
	v_fma_f32 v132, v94, v80, -v82
	v_fmac_f32_e32 v133, v95, v80
	global_load_b64 v[80:81], v0, s[2:3]
	scratch_load_b32 v0, off, off offset:292 ; 4-byte Folded Reload
	s_waitcnt vmcnt(1)
	v_mul_f32_e32 v82, v113, v81
	v_mul_f32_e32 v101, v112, v81
	s_delay_alu instid0(VALU_DEP_2) | instskip(NEXT) | instid1(VALU_DEP_2)
	v_fma_f32 v100, v112, v80, -v82
	v_fmac_f32_e32 v101, v113, v80
	global_load_b64 v[80:81], v[98:99], off offset:3328
	s_waitcnt vmcnt(0)
	v_mul_f32_e32 v82, v91, v81
	v_mul_f32_e32 v135, v90, v81
	s_delay_alu instid0(VALU_DEP_2) | instskip(NEXT) | instid1(VALU_DEP_2)
	v_fma_f32 v134, v90, v80, -v82
	v_fmac_f32_e32 v135, v91, v80
	global_load_b64 v[80:81], v[96:97], off offset:1536
	s_waitcnt vmcnt(0)
	v_mul_f32_e32 v82, v117, v81
	v_mul_f32_e32 v95, v116, v81
	s_delay_alu instid0(VALU_DEP_2) | instskip(NEXT) | instid1(VALU_DEP_2)
	v_fma_f32 v94, v116, v80, -v82
	v_fmac_f32_e32 v95, v117, v80
	global_load_b64 v[80:81], v[96:97], off offset:3840
	s_waitcnt vmcnt(0)
	v_mul_f32_e32 v82, v87, v81
	v_mul_f32_e32 v137, v86, v81
	s_delay_alu instid0(VALU_DEP_2) | instskip(NEXT) | instid1(VALU_DEP_2)
	v_fma_f32 v136, v86, v80, -v82
	v_fmac_f32_e32 v137, v87, v80
	global_load_b64 v[80:81], v0, s[2:3]
	v_add_co_u32 v86, vcc_lo, 0x5000, v145
	v_add_co_ci_u32_e32 v87, vcc_lo, 0, v149, vcc_lo
	global_load_b64 v[108:109], v[86:87], off offset:256
	scratch_load_b32 v0, off, off offset:284 ; 4-byte Folded Reload
	s_waitcnt vmcnt(2)
	v_mul_f32_e32 v82, v121, v81
	v_mul_f32_e32 v91, v120, v81
	s_delay_alu instid0(VALU_DEP_2) | instskip(NEXT) | instid1(VALU_DEP_2)
	v_fma_f32 v90, v120, v80, -v82
	v_fmac_f32_e32 v91, v121, v80
	ds_load_2addr_b64 v[80:83], v158 offset0:64 offset1:160
	s_waitcnt vmcnt(1) lgkmcnt(0)
	v_mul_f32_e32 v112, v83, v109
	v_mul_f32_e32 v139, v82, v109
	s_delay_alu instid0(VALU_DEP_2) | instskip(NEXT) | instid1(VALU_DEP_2)
	v_fma_f32 v138, v82, v108, -v112
	v_fmac_f32_e32 v139, v83, v108
	global_load_b64 v[82:83], v160, s[2:3] offset:768
	s_waitcnt vmcnt(0)
	v_mul_f32_e32 v108, v105, v83
	v_mul_f32_e32 v148, v104, v83
	s_delay_alu instid0(VALU_DEP_2) | instskip(NEXT) | instid1(VALU_DEP_2)
	v_fma_f32 v147, v104, v82, -v108
	v_fmac_f32_e32 v148, v105, v82
	global_load_b64 v[82:83], v160, s[2:3] offset:3072
	s_waitcnt vmcnt(0)
	v_mul_f32_e32 v104, v125, v83
	v_mul_f32_e32 v105, v124, v83
	s_delay_alu instid0(VALU_DEP_2) | instskip(NEXT) | instid1(VALU_DEP_2)
	v_fma_f32 v104, v124, v82, -v104
	v_fmac_f32_e32 v105, v125, v82
	global_load_b64 v[82:83], v[130:131], off offset:1280
	ds_store_2addr_b64 v140, v[128:129], v[104:105] offset0:32 offset1:128
	s_waitcnt vmcnt(0)
	v_mul_f32_e32 v104, v111, v83
	v_mul_f32_e32 v105, v110, v83
	s_delay_alu instid0(VALU_DEP_2) | instskip(NEXT) | instid1(VALU_DEP_2)
	v_fma_f32 v104, v110, v82, -v104
	v_fmac_f32_e32 v105, v111, v82
	global_load_b64 v[82:83], v[130:131], off offset:3584
	ds_load_2addr_b64 v[108:111], v167 offset0:64 offset1:160
	s_waitcnt vmcnt(0) lgkmcnt(0)
	v_mul_f32_e32 v112, v109, v83
	v_mul_f32_e32 v113, v108, v83
	s_delay_alu instid0(VALU_DEP_2) | instskip(NEXT) | instid1(VALU_DEP_2)
	v_fma_f32 v112, v108, v82, -v112
	v_fmac_f32_e32 v113, v109, v82
	global_load_b64 v[82:83], v[98:99], off offset:1792
	ds_store_2addr_b64 v143, v[132:133], v[112:113] offset0:96 offset1:192
	s_waitcnt vmcnt(0)
	v_mul_f32_e32 v108, v115, v83
	v_mul_f32_e32 v109, v114, v83
	s_delay_alu instid0(VALU_DEP_2) | instskip(NEXT) | instid1(VALU_DEP_2)
	v_fma_f32 v108, v114, v82, -v108
	v_fmac_f32_e32 v109, v115, v82
	global_load_b64 v[82:83], v0, s[2:3]
	ds_load_2addr_b64 v[112:115], v157 offset1:96
	scratch_load_b32 v0, off, off offset:280 ; 4-byte Folded Reload
	s_waitcnt vmcnt(1) lgkmcnt(0)
	v_mul_f32_e32 v116, v113, v83
	v_mul_f32_e32 v117, v112, v83
	s_delay_alu instid0(VALU_DEP_2) | instskip(NEXT) | instid1(VALU_DEP_2)
	v_fma_f32 v116, v112, v82, -v116
	v_fmac_f32_e32 v117, v113, v82
	global_load_b64 v[82:83], v[96:97], off offset:2304
	ds_store_2addr_b64 v156, v[134:135], v[116:117] offset0:32 offset1:128
	s_waitcnt vmcnt(0)
	v_mul_f32_e32 v112, v119, v83
	v_mul_f32_e32 v113, v118, v83
	s_delay_alu instid0(VALU_DEP_2) | instskip(NEXT) | instid1(VALU_DEP_2)
	v_fma_f32 v112, v118, v82, -v112
	v_fmac_f32_e32 v113, v119, v82
	v_add_co_u32 v82, vcc_lo, 0x4000, v145
	v_add_co_ci_u32_e32 v83, vcc_lo, 0, v149, vcc_lo
	ds_load_2addr_b64 v[116:119], v155 offset0:64 offset1:160
	global_load_b64 v[120:121], v[82:83], off offset:512
	s_waitcnt vmcnt(0) lgkmcnt(0)
	v_mul_f32_e32 v124, v117, v121
	v_mul_f32_e32 v125, v116, v121
	s_delay_alu instid0(VALU_DEP_2) | instskip(NEXT) | instid1(VALU_DEP_2)
	v_fma_f32 v124, v116, v120, -v124
	v_fmac_f32_e32 v125, v117, v120
	v_add_nc_u32_e32 v116, 0x3c00, v160
	ds_store_2addr_b64 v116, v[136:137], v[124:125] offset0:96 offset1:192
	global_load_b64 v[116:117], v[82:83], off offset:2816
	s_waitcnt vmcnt(0)
	v_mul_f32_e32 v120, v123, v117
	v_mul_f32_e32 v125, v122, v117
	s_delay_alu instid0(VALU_DEP_2) | instskip(NEXT) | instid1(VALU_DEP_2)
	v_fma_f32 v124, v122, v116, -v120
	v_fmac_f32_e32 v125, v123, v116
	global_load_b64 v[116:117], v0, s[2:3]
	ds_load_2addr_b64 v[120:123], v141 offset0:128 offset1:224
	scratch_load_b32 v0, off, off offset:296 ; 4-byte Folded Reload
	s_waitcnt vmcnt(1) lgkmcnt(0)
	v_mul_f32_e32 v128, v121, v117
	v_mul_f32_e32 v129, v120, v117
	s_delay_alu instid0(VALU_DEP_2) | instskip(NEXT) | instid1(VALU_DEP_2)
	v_fma_f32 v128, v120, v116, -v128
	v_fmac_f32_e32 v129, v121, v116
	global_load_b64 v[116:117], v160, s[2:3] offset:1536
	ds_store_2addr_b64 v141, v[138:139], v[128:129] offset0:32 offset1:128
	s_waitcnt vmcnt(0)
	v_mul_f32_e32 v120, v107, v117
	v_mul_f32_e32 v121, v106, v117
	s_delay_alu instid0(VALU_DEP_2) | instskip(NEXT) | instid1(VALU_DEP_2)
	v_fma_f32 v120, v106, v116, -v120
	v_fmac_f32_e32 v121, v107, v116
	global_load_b64 v[106:107], v160, s[2:3] offset:3840
	ds_store_2addr_b64 v160, v[147:148], v[120:121] offset0:96 offset1:192
	s_waitcnt vmcnt(0)
	v_mul_f32_e32 v116, v127, v107
	v_mul_f32_e32 v117, v126, v107
	s_delay_alu instid0(VALU_DEP_2) | instskip(NEXT) | instid1(VALU_DEP_2)
	v_fma_f32 v116, v126, v106, -v116
	v_fmac_f32_e32 v117, v127, v106
	ds_store_2addr_b64 v146, v[116:117], v[102:103] offset0:96 offset1:192
	global_load_b64 v[102:103], v0, s[2:3]
	scratch_load_b32 v0, off, off offset:304 ; 4-byte Folded Reload
	s_waitcnt vmcnt(1)
	v_mul_f32_e32 v106, v93, v103
	v_mul_f32_e32 v107, v92, v103
	s_delay_alu instid0(VALU_DEP_2) | instskip(NEXT) | instid1(VALU_DEP_2)
	v_fma_f32 v106, v92, v102, -v106
	v_fmac_f32_e32 v107, v93, v102
	global_load_b64 v[92:93], v[98:99], off offset:256
	ds_store_2addr_b64 v200, v[104:105], v[106:107] offset0:32 offset1:128
	v_mov_b32_e32 v200, v159
	s_waitcnt vmcnt(0)
	v_mul_f32_e32 v102, v111, v93
	v_mul_f32_e32 v103, v110, v93
	s_delay_alu instid0(VALU_DEP_2) | instskip(NEXT) | instid1(VALU_DEP_2)
	v_fma_f32 v102, v110, v92, -v102
	v_fmac_f32_e32 v103, v111, v92
	global_load_b64 v[92:93], v[98:99], off offset:2560
	ds_store_2addr_b64 v159, v[102:103], v[100:101] offset0:32 offset1:128
	s_waitcnt vmcnt(0)
	v_mul_f32_e32 v98, v89, v93
	v_mul_f32_e32 v99, v88, v93
	s_delay_alu instid0(VALU_DEP_2) | instskip(NEXT) | instid1(VALU_DEP_2)
	v_fma_f32 v98, v88, v92, -v98
	v_fmac_f32_e32 v99, v89, v92
	global_load_b64 v[88:89], v[96:97], off offset:768
	ds_store_2addr_b64 v1, v[108:109], v[98:99] offset0:96 offset1:192
	s_waitcnt vmcnt(0)
	v_dual_mov_b32 v1, v157 :: v_dual_mul_f32 v92, v115, v89
	v_mul_f32_e32 v93, v114, v89
	s_delay_alu instid0(VALU_DEP_2) | instskip(NEXT) | instid1(VALU_DEP_2)
	v_fma_f32 v92, v114, v88, -v92
	v_fmac_f32_e32 v93, v115, v88
	global_load_b64 v[88:89], v0, s[2:3]
	s_mov_b32 s2, 0x16c16c17
	s_mov_b32 s3, 0x3f36c16c
	ds_store_2addr_b64 v157, v[92:93], v[94:95] offset0:96 offset1:192
	s_waitcnt vmcnt(0)
	v_mul_f32_e32 v92, v85, v89
	v_mul_f32_e32 v93, v84, v89
	s_delay_alu instid0(VALU_DEP_2) | instskip(NEXT) | instid1(VALU_DEP_2)
	v_fma_f32 v92, v84, v88, -v92
	v_fmac_f32_e32 v93, v85, v88
	s_clause 0x1
	global_load_b64 v[84:85], v[82:83], off offset:1280
	global_load_b64 v[82:83], v[82:83], off offset:3584
	ds_store_2addr_b64 v192, v[112:113], v[92:93] offset0:32 offset1:128
	s_waitcnt vmcnt(1)
	v_mul_f32_e32 v88, v119, v85
	v_mul_f32_e32 v89, v118, v85
	s_waitcnt vmcnt(0)
	v_mul_f32_e32 v85, v80, v83
	s_delay_alu instid0(VALU_DEP_3) | instskip(NEXT) | instid1(VALU_DEP_3)
	v_fma_f32 v88, v118, v84, -v88
	v_fmac_f32_e32 v89, v119, v84
	s_delay_alu instid0(VALU_DEP_3) | instskip(SKIP_2) | instid1(VALU_DEP_1)
	v_dual_fmac_f32 v85, v81, v82 :: v_dual_add_nc_u32 v84, 0x4400, v160
	ds_store_2addr_b64 v84, v[88:89], v[90:91] offset0:32 offset1:128
	v_mul_f32_e32 v84, v81, v83
	v_fma_f32 v84, v80, v82, -v84
	global_load_b64 v[80:81], v[86:87], off offset:1792
	ds_store_2addr_b64 v215, v[124:125], v[84:85] offset0:96 offset1:192
	s_waitcnt vmcnt(0)
	v_mul_f32_e32 v82, v123, v81
	v_mul_f32_e32 v83, v122, v81
	s_delay_alu instid0(VALU_DEP_2) | instskip(NEXT) | instid1(VALU_DEP_2)
	v_fma_f32 v82, v122, v80, -v82
	v_fmac_f32_e32 v83, v123, v80
	ds_store_b64 v160, v[82:83] offset:22272
	s_waitcnt lgkmcnt(0)
	s_barrier
	buffer_gl0_inv
	ds_load_2addr_b64 v[100:103], v160 offset1:96
	ds_load_2addr_b64 v[80:83], v150 offset0:64 offset1:160
	ds_load_2addr_b64 v[104:107], v144 offset0:64 offset1:160
	ds_load_2addr_b64 v[144:147], v143 offset1:96
	ds_load_2addr_b64 v[108:111], v159 offset0:128 offset1:224
	ds_load_2addr_b64 v[148:151], v2 offset0:64 offset1:160
	;; [unrolled: 1-line block ×4, first 2 shown]
	ds_load_2addr_b64 v[116:119], v215 offset1:96
	ds_load_2addr_b64 v[156:159], v158 offset0:64 offset1:160
	ds_load_2addr_b64 v[84:87], v140 offset0:128 offset1:224
	;; [unrolled: 1-line block ×3, first 2 shown]
	ds_load_2addr_b64 v[92:95], v1 offset1:96
	ds_load_2addr_b64 v[96:99], v3 offset0:64 offset1:160
	ds_load_2addr_b64 v[140:143], v141 offset0:128 offset1:224
	s_waitcnt lgkmcnt(0)
	s_barrier
	buffer_gl0_inv
	v_sub_f32_e32 v125, v116, v112
	v_add_f32_e32 v120, v100, v104
	v_sub_f32_e32 v1, v104, v116
	v_dual_sub_f32 v121, v109, v113 :: v_dual_sub_f32 v124, v104, v108
	v_sub_f32_e32 v3, v108, v112
	s_delay_alu instid0(VALU_DEP_4) | instskip(NEXT) | instid1(VALU_DEP_3)
	v_add_f32_e32 v120, v120, v108
	v_add_f32_e32 v124, v124, v125
	v_sub_f32_e32 v125, v112, v116
	s_delay_alu instid0(VALU_DEP_3) | instskip(NEXT) | instid1(VALU_DEP_1)
	v_add_f32_e32 v120, v120, v112
	v_add_f32_e32 v122, v120, v116
	;; [unrolled: 1-line block ×3, first 2 shown]
	v_sub_f32_e32 v112, v146, v150
	s_delay_alu instid0(VALU_DEP_2) | instskip(SKIP_1) | instid1(VALU_DEP_1)
	v_fma_f32 v123, -0.5, v120, v100
	v_sub_f32_e32 v120, v105, v117
	v_fmamk_f32 v132, v120, 0xbf737871, v123
	v_fmac_f32_e32 v123, 0x3f737871, v120
	s_delay_alu instid0(VALU_DEP_2) | instskip(NEXT) | instid1(VALU_DEP_2)
	v_fmac_f32_e32 v132, 0xbf167918, v121
	v_fmac_f32_e32 v123, 0x3f167918, v121
	s_delay_alu instid0(VALU_DEP_2) | instskip(NEXT) | instid1(VALU_DEP_2)
	v_fmac_f32_e32 v132, 0x3e9e377a, v124
	v_fmac_f32_e32 v123, 0x3e9e377a, v124
	v_add_f32_e32 v124, v104, v116
	v_sub_f32_e32 v116, v154, v158
	s_delay_alu instid0(VALU_DEP_2) | instskip(SKIP_3) | instid1(VALU_DEP_4)
	v_fma_f32 v100, -0.5, v124, v100
	v_sub_f32_e32 v124, v108, v104
	v_sub_f32_e32 v104, v105, v109
	;; [unrolled: 1-line block ×3, first 2 shown]
	v_fmamk_f32 v133, v121, 0x3f737871, v100
	v_dual_fmac_f32 v100, 0xbf737871, v121 :: v_dual_sub_f32 v121, v159, v155
	s_delay_alu instid0(VALU_DEP_3) | instskip(NEXT) | instid1(VALU_DEP_3)
	v_add_f32_e32 v104, v104, v108
	v_dual_sub_f32 v108, v113, v117 :: v_dual_fmac_f32 v133, 0xbf167918, v120
	s_delay_alu instid0(VALU_DEP_3) | instskip(SKIP_2) | instid1(VALU_DEP_1)
	v_fmac_f32_e32 v100, 0x3f167918, v120
	v_add_f32_e32 v120, v101, v105
	v_add_f32_e32 v124, v124, v125
	v_dual_add_f32 v120, v120, v109 :: v_dual_fmac_f32 v133, 0x3e9e377a, v124
	s_delay_alu instid0(VALU_DEP_4) | instskip(SKIP_1) | instid1(VALU_DEP_3)
	v_fmac_f32_e32 v100, 0x3e9e377a, v124
	v_sub_f32_e32 v124, v155, v159
	v_add_f32_e32 v120, v120, v113
	s_delay_alu instid0(VALU_DEP_1) | instskip(SKIP_1) | instid1(VALU_DEP_1)
	v_add_f32_e32 v135, v120, v117
	v_dual_add_f32 v120, v109, v113 :: v_dual_sub_f32 v113, v158, v154
	v_fma_f32 v0, -0.5, v120, v101
	s_delay_alu instid0(VALU_DEP_2) | instskip(SKIP_1) | instid1(VALU_DEP_3)
	v_dual_add_f32 v112, v112, v113 :: v_dual_sub_f32 v113, v150, v146
	v_sub_f32_e32 v120, v147, v151
	v_fmamk_f32 v2, v1, 0x3f737871, v0
	s_delay_alu instid0(VALU_DEP_3) | instskip(NEXT) | instid1(VALU_DEP_3)
	v_dual_fmac_f32 v0, 0xbf737871, v1 :: v_dual_add_f32 v113, v113, v116
	v_add_f32_e32 v120, v120, v121
	s_delay_alu instid0(VALU_DEP_3) | instskip(NEXT) | instid1(VALU_DEP_3)
	v_fmac_f32_e32 v2, 0x3f167918, v3
	v_fmac_f32_e32 v0, 0xbf167918, v3
	s_delay_alu instid0(VALU_DEP_2) | instskip(NEXT) | instid1(VALU_DEP_2)
	v_fmac_f32_e32 v2, 0x3e9e377a, v104
	v_fmac_f32_e32 v0, 0x3e9e377a, v104
	v_add_f32_e32 v104, v105, v117
	v_sub_f32_e32 v105, v109, v105
	v_sub_f32_e32 v109, v151, v155
	;; [unrolled: 1-line block ×3, first 2 shown]
	s_delay_alu instid0(VALU_DEP_4) | instskip(NEXT) | instid1(VALU_DEP_1)
	v_fma_f32 v101, -0.5, v104, v101
	v_dual_add_f32 v105, v105, v108 :: v_dual_fmamk_f32 v104, v3, 0xbf737871, v101
	v_fmac_f32_e32 v101, 0x3f737871, v3
	s_delay_alu instid0(VALU_DEP_2) | instskip(NEXT) | instid1(VALU_DEP_2)
	v_dual_add_f32 v3, v150, v154 :: v_dual_fmac_f32 v104, 0x3f167918, v1
	v_fmac_f32_e32 v101, 0xbf167918, v1
	s_delay_alu instid0(VALU_DEP_2) | instskip(NEXT) | instid1(VALU_DEP_3)
	v_fma_f32 v3, -0.5, v3, v82
	v_dual_add_f32 v1, v82, v146 :: v_dual_fmac_f32 v104, 0x3e9e377a, v105
	s_delay_alu instid0(VALU_DEP_3) | instskip(SKIP_1) | instid1(VALU_DEP_3)
	v_fmac_f32_e32 v101, 0x3e9e377a, v105
	v_sub_f32_e32 v105, v147, v159
	v_dual_add_f32 v1, v1, v150 :: v_dual_add_nc_u32 v150, 0x400, v160
	s_delay_alu instid0(VALU_DEP_2) | instskip(SKIP_1) | instid1(VALU_DEP_3)
	v_fmamk_f32 v108, v105, 0xbf737871, v3
	v_fmac_f32_e32 v3, 0x3f737871, v105
	v_dual_add_f32 v1, v1, v154 :: v_dual_add_nc_u32 v154, 0x3400, v160
	s_delay_alu instid0(VALU_DEP_3) | instskip(NEXT) | instid1(VALU_DEP_3)
	v_fmac_f32_e32 v108, 0xbf167918, v109
	v_fmac_f32_e32 v3, 0x3f167918, v109
	s_delay_alu instid0(VALU_DEP_2) | instskip(NEXT) | instid1(VALU_DEP_2)
	v_dual_add_f32 v1, v1, v158 :: v_dual_fmac_f32 v108, 0x3e9e377a, v112
	v_dual_fmac_f32 v3, 0x3e9e377a, v112 :: v_dual_add_f32 v112, v146, v158
	s_delay_alu instid0(VALU_DEP_2) | instskip(SKIP_2) | instid1(VALU_DEP_4)
	v_add_f32_e32 v128, v122, v1
	v_sub_f32_e32 v122, v122, v1
	v_add_f32_e32 v1, v110, v114
	v_fma_f32 v82, -0.5, v112, v82
	s_delay_alu instid0(VALU_DEP_2) | instskip(NEXT) | instid1(VALU_DEP_2)
	v_fma_f32 v1, -0.5, v1, v102
	v_fmamk_f32 v112, v109, 0x3f737871, v82
	v_dual_fmac_f32 v82, 0xbf737871, v109 :: v_dual_add_f32 v109, v151, v155
	s_delay_alu instid0(VALU_DEP_2) | instskip(NEXT) | instid1(VALU_DEP_2)
	v_fmac_f32_e32 v112, 0xbf167918, v105
	v_fmac_f32_e32 v82, 0x3f167918, v105
	s_delay_alu instid0(VALU_DEP_3) | instskip(NEXT) | instid1(VALU_DEP_3)
	v_fma_f32 v109, -0.5, v109, v83
	v_dual_add_f32 v105, v83, v147 :: v_dual_fmac_f32 v112, 0x3e9e377a, v113
	s_delay_alu instid0(VALU_DEP_3) | instskip(NEXT) | instid1(VALU_DEP_2)
	v_dual_fmac_f32 v82, 0x3e9e377a, v113 :: v_dual_sub_f32 v113, v146, v158
	v_dual_add_f32 v105, v105, v151 :: v_dual_add_nc_u32 v158, 0x2800, v160
	s_delay_alu instid0(VALU_DEP_2) | instskip(SKIP_1) | instid1(VALU_DEP_3)
	v_fmamk_f32 v116, v113, 0x3f737871, v109
	v_fmac_f32_e32 v109, 0xbf737871, v113
	v_add_f32_e32 v105, v105, v155
	v_add_nc_u32_e32 v155, 0x800, v160
	s_delay_alu instid0(VALU_DEP_4) | instskip(NEXT) | instid1(VALU_DEP_4)
	v_fmac_f32_e32 v116, 0x3f167918, v117
	v_fmac_f32_e32 v109, 0xbf167918, v117
	s_delay_alu instid0(VALU_DEP_2) | instskip(NEXT) | instid1(VALU_DEP_2)
	v_dual_add_f32 v105, v105, v159 :: v_dual_fmac_f32 v116, 0x3e9e377a, v120
	v_dual_fmac_f32 v109, 0x3e9e377a, v120 :: v_dual_add_f32 v120, v147, v159
	s_delay_alu instid0(VALU_DEP_2) | instskip(NEXT) | instid1(VALU_DEP_2)
	v_add_f32_e32 v129, v135, v105
	v_mul_f32_e32 v137, 0xbf167918, v109
	s_delay_alu instid0(VALU_DEP_3) | instskip(SKIP_1) | instid1(VALU_DEP_3)
	v_fma_f32 v83, -0.5, v120, v83
	v_dual_sub_f32 v120, v151, v147 :: v_dual_add_nc_u32 v151, 0x1000, v160
	v_fmac_f32_e32 v137, 0xbf4f1bbd, v3
	s_delay_alu instid0(VALU_DEP_3) | instskip(NEXT) | instid1(VALU_DEP_3)
	v_fmamk_f32 v121, v117, 0xbf737871, v83
	v_dual_fmac_f32 v83, 0x3f737871, v117 :: v_dual_add_f32 v120, v120, v124
	s_delay_alu instid0(VALU_DEP_2) | instskip(NEXT) | instid1(VALU_DEP_2)
	v_fmac_f32_e32 v121, 0x3f167918, v113
	v_fmac_f32_e32 v83, 0xbf167918, v113
	v_mul_f32_e32 v113, 0xbf167918, v116
	s_delay_alu instid0(VALU_DEP_3) | instskip(NEXT) | instid1(VALU_DEP_3)
	v_fmac_f32_e32 v121, 0x3e9e377a, v120
	v_fmac_f32_e32 v83, 0x3e9e377a, v120
	s_delay_alu instid0(VALU_DEP_3) | instskip(SKIP_2) | instid1(VALU_DEP_4)
	v_fmac_f32_e32 v113, 0x3f4f1bbd, v108
	v_mul_f32_e32 v108, 0x3f167918, v108
	v_add_f32_e32 v120, v123, v137
	v_dual_mul_f32 v117, 0xbf737871, v121 :: v_dual_mul_f32 v134, 0xbf737871, v83
	v_mul_f32_e32 v83, 0xbe9e377a, v83
	s_delay_alu instid0(VALU_DEP_4) | instskip(NEXT) | instid1(VALU_DEP_3)
	v_fmac_f32_e32 v108, 0x3f4f1bbd, v116
	v_dual_add_f32 v130, v132, v113 :: v_dual_fmac_f32 v117, 0x3e9e377a, v112
	s_delay_alu instid0(VALU_DEP_4) | instskip(NEXT) | instid1(VALU_DEP_4)
	v_fmac_f32_e32 v134, 0xbe9e377a, v82
	v_fmac_f32_e32 v83, 0x3f737871, v82
	s_delay_alu instid0(VALU_DEP_4) | instskip(SKIP_1) | instid1(VALU_DEP_4)
	v_dual_mul_f32 v82, 0xbf4f1bbd, v109 :: v_dual_add_f32 v131, v2, v108
	v_sub_f32_e32 v136, v132, v113
	v_add_f32_e32 v126, v100, v134
	v_sub_f32_e32 v132, v100, v134
	s_delay_alu instid0(VALU_DEP_4)
	v_fmac_f32_e32 v82, 0x3f167918, v3
	v_dual_sub_f32 v134, v123, v137 :: v_dual_sub_f32 v137, v2, v108
	v_sub_f32_e32 v2, v107, v119
	v_add_f32_e32 v124, v133, v117
	v_dual_mul_f32 v116, 0x3e9e377a, v121 :: v_dual_add_f32 v127, v101, v83
	v_dual_add_f32 v121, v0, v82 :: v_dual_sub_f32 v138, v133, v117
	v_sub_f32_e32 v123, v135, v105
	v_sub_f32_e32 v133, v101, v83
	v_sub_f32_e32 v135, v0, v82
	v_dual_fmamk_f32 v3, v2, 0xbf737871, v1 :: v_dual_sub_f32 v82, v111, v115
	v_sub_f32_e32 v83, v106, v110
	v_sub_f32_e32 v100, v118, v114
	v_fmac_f32_e32 v1, 0x3f737871, v2
	v_add_f32_e32 v0, v102, v106
	v_fmac_f32_e32 v3, 0xbf167918, v82
	v_sub_f32_e32 v101, v110, v106
	v_add_f32_e32 v83, v83, v100
	v_fmac_f32_e32 v1, 0x3f167918, v82
	v_dual_fmac_f32 v116, 0x3f737871, v112 :: v_dual_sub_f32 v105, v119, v115
	s_delay_alu instid0(VALU_DEP_3) | instskip(NEXT) | instid1(VALU_DEP_3)
	v_dual_sub_f32 v108, v140, v96 :: v_dual_fmac_f32 v3, 0x3e9e377a, v83
	v_fmac_f32_e32 v1, 0x3e9e377a, v83
	v_add_f32_e32 v83, v106, v118
	s_delay_alu instid0(VALU_DEP_4) | instskip(SKIP_2) | instid1(VALU_DEP_4)
	v_add_f32_e32 v125, v104, v116
	v_dual_sub_f32 v139, v104, v116 :: v_dual_sub_f32 v104, v107, v111
	v_add_f32_e32 v0, v0, v110
	v_fma_f32 v83, -0.5, v83, v102
	v_sub_f32_e32 v102, v114, v118
	s_delay_alu instid0(VALU_DEP_4) | instskip(NEXT) | instid1(VALU_DEP_3)
	v_dual_add_f32 v104, v104, v105 :: v_dual_sub_f32 v105, v115, v119
	v_fmamk_f32 v100, v82, 0x3f737871, v83
	v_fmac_f32_e32 v83, 0xbf737871, v82
	s_delay_alu instid0(VALU_DEP_4) | instskip(SKIP_1) | instid1(VALU_DEP_4)
	v_dual_add_f32 v101, v101, v102 :: v_dual_add_f32 v82, v111, v115
	v_sub_f32_e32 v102, v110, v114
	v_fmac_f32_e32 v100, 0xbf167918, v2
	s_delay_alu instid0(VALU_DEP_4) | instskip(NEXT) | instid1(VALU_DEP_4)
	v_dual_fmac_f32 v83, 0x3f167918, v2 :: v_dual_add_f32 v2, v103, v107
	v_fma_f32 v82, -0.5, v82, v103
	v_sub_f32_e32 v110, v96, v140
	s_delay_alu instid0(VALU_DEP_4) | instskip(NEXT) | instid1(VALU_DEP_4)
	v_fmac_f32_e32 v100, 0x3e9e377a, v101
	v_fmac_f32_e32 v83, 0x3e9e377a, v101
	v_dual_sub_f32 v101, v106, v118 :: v_dual_sub_f32 v106, v93, v97
	v_add_f32_e32 v2, v2, v111
	s_delay_alu instid0(VALU_DEP_2) | instskip(SKIP_1) | instid1(VALU_DEP_3)
	v_dual_add_f32 v0, v0, v114 :: v_dual_fmamk_f32 v109, v101, 0x3f737871, v82
	v_fmac_f32_e32 v82, 0xbf737871, v101
	v_add_f32_e32 v2, v2, v115
	s_delay_alu instid0(VALU_DEP_3) | instskip(NEXT) | instid1(VALU_DEP_4)
	v_add_f32_e32 v0, v0, v118
	v_fmac_f32_e32 v109, 0x3f167918, v102
	s_delay_alu instid0(VALU_DEP_4) | instskip(NEXT) | instid1(VALU_DEP_2)
	v_fmac_f32_e32 v82, 0xbf167918, v102
	v_dual_add_f32 v2, v2, v119 :: v_dual_fmac_f32 v109, 0x3e9e377a, v104
	s_delay_alu instid0(VALU_DEP_2) | instskip(SKIP_1) | instid1(VALU_DEP_1)
	v_fmac_f32_e32 v82, 0x3e9e377a, v104
	v_add_f32_e32 v104, v107, v119
	v_dual_fmac_f32 v103, -0.5, v104 :: v_dual_sub_f32 v104, v111, v107
	s_delay_alu instid0(VALU_DEP_1) | instskip(NEXT) | instid1(VALU_DEP_2)
	v_dual_sub_f32 v107, v88, v92 :: v_dual_fmamk_f32 v146, v102, 0xbf737871, v103
	v_dual_fmac_f32 v103, 0x3f737871, v102 :: v_dual_add_f32 v104, v104, v105
	v_add_f32_e32 v102, v92, v96
	s_delay_alu instid0(VALU_DEP_3) | instskip(NEXT) | instid1(VALU_DEP_3)
	v_dual_add_f32 v107, v107, v108 :: v_dual_fmac_f32 v146, 0x3f167918, v101
	v_fmac_f32_e32 v103, 0xbf167918, v101
	v_add_f32_e32 v101, v84, v88
	s_delay_alu instid0(VALU_DEP_4) | instskip(SKIP_3) | instid1(VALU_DEP_3)
	v_fma_f32 v102, -0.5, v102, v84
	v_sub_f32_e32 v108, v92, v88
	v_fmac_f32_e32 v146, 0x3e9e377a, v104
	v_dual_fmac_f32 v103, 0x3e9e377a, v104 :: v_dual_sub_f32 v104, v89, v141
	v_dual_add_f32 v101, v101, v92 :: v_dual_add_f32 v108, v108, v110
	v_sub_f32_e32 v92, v92, v96
	s_delay_alu instid0(VALU_DEP_3) | instskip(SKIP_1) | instid1(VALU_DEP_4)
	v_fmamk_f32 v105, v104, 0xbf737871, v102
	v_fmac_f32_e32 v102, 0x3f737871, v104
	v_add_f32_e32 v101, v101, v96
	s_delay_alu instid0(VALU_DEP_3) | instskip(NEXT) | instid1(VALU_DEP_2)
	v_dual_sub_f32 v96, v89, v93 :: v_dual_fmac_f32 v105, 0xbf167918, v106
	v_dual_fmac_f32 v102, 0x3f167918, v106 :: v_dual_add_f32 v101, v101, v140
	s_delay_alu instid0(VALU_DEP_2) | instskip(NEXT) | instid1(VALU_DEP_2)
	v_fmac_f32_e32 v105, 0x3e9e377a, v107
	v_dual_fmac_f32 v102, 0x3e9e377a, v107 :: v_dual_add_f32 v107, v88, v140
	v_sub_f32_e32 v88, v88, v140
	s_delay_alu instid0(VALU_DEP_4) | instskip(NEXT) | instid1(VALU_DEP_3)
	v_add_f32_e32 v116, v0, v101
	v_fma_f32 v84, -0.5, v107, v84
	s_delay_alu instid0(VALU_DEP_1) | instskip(SKIP_1) | instid1(VALU_DEP_2)
	v_fmamk_f32 v107, v106, 0x3f737871, v84
	v_fmac_f32_e32 v84, 0xbf737871, v106
	v_fmac_f32_e32 v107, 0xbf167918, v104
	s_delay_alu instid0(VALU_DEP_2) | instskip(NEXT) | instid1(VALU_DEP_2)
	v_fmac_f32_e32 v84, 0x3f167918, v104
	v_dual_add_f32 v104, v85, v89 :: v_dual_fmac_f32 v107, 0x3e9e377a, v108
	s_delay_alu instid0(VALU_DEP_2) | instskip(NEXT) | instid1(VALU_DEP_2)
	v_fmac_f32_e32 v84, 0x3e9e377a, v108
	v_add_f32_e32 v104, v104, v93
	s_delay_alu instid0(VALU_DEP_1) | instskip(NEXT) | instid1(VALU_DEP_1)
	v_add_f32_e32 v104, v104, v97
	v_add_f32_e32 v111, v104, v141
	s_delay_alu instid0(VALU_DEP_1) | instskip(NEXT) | instid1(VALU_DEP_1)
	v_dual_add_f32 v104, v93, v97 :: v_dual_add_f32 v117, v2, v111
	v_fma_f32 v106, -0.5, v104, v85
	v_sub_f32_e32 v104, v141, v97
	s_delay_alu instid0(VALU_DEP_2) | instskip(SKIP_1) | instid1(VALU_DEP_3)
	v_fmamk_f32 v108, v88, 0x3f737871, v106
	v_fmac_f32_e32 v106, 0xbf737871, v88
	v_add_f32_e32 v96, v96, v104
	s_delay_alu instid0(VALU_DEP_3) | instskip(NEXT) | instid1(VALU_DEP_3)
	v_fmac_f32_e32 v108, 0x3f167918, v92
	v_fmac_f32_e32 v106, 0xbf167918, v92
	s_delay_alu instid0(VALU_DEP_2) | instskip(NEXT) | instid1(VALU_DEP_2)
	v_fmac_f32_e32 v108, 0x3e9e377a, v96
	v_fmac_f32_e32 v106, 0x3e9e377a, v96
	v_add_f32_e32 v96, v89, v141
	v_sub_f32_e32 v89, v93, v89
	v_sub_f32_e32 v93, v97, v141
	v_mul_f32_e32 v97, 0x3f167918, v105
	s_delay_alu instid0(VALU_DEP_4) | instskip(NEXT) | instid1(VALU_DEP_3)
	v_fma_f32 v85, -0.5, v96, v85
	v_add_f32_e32 v89, v89, v93
	v_mul_f32_e32 v93, 0xbf167918, v106
	s_delay_alu instid0(VALU_DEP_4) | instskip(NEXT) | instid1(VALU_DEP_4)
	v_fmac_f32_e32 v97, 0x3f4f1bbd, v108
	v_fmamk_f32 v96, v92, 0xbf737871, v85
	v_fmac_f32_e32 v85, 0x3f737871, v92
	s_delay_alu instid0(VALU_DEP_4) | instskip(NEXT) | instid1(VALU_DEP_3)
	v_fmac_f32_e32 v93, 0xbf4f1bbd, v102
	v_dual_add_f32 v119, v109, v97 :: v_dual_fmac_f32 v96, 0x3f167918, v88
	s_delay_alu instid0(VALU_DEP_3) | instskip(SKIP_1) | instid1(VALU_DEP_4)
	v_fmac_f32_e32 v85, 0xbf167918, v88
	v_mul_f32_e32 v88, 0xbf167918, v108
	v_add_f32_e32 v104, v1, v93
	v_sub_f32_e32 v109, v109, v97
	v_fmac_f32_e32 v96, 0x3e9e377a, v89
	v_fmac_f32_e32 v85, 0x3e9e377a, v89
	v_dual_fmac_f32 v88, 0x3f4f1bbd, v105 :: v_dual_sub_f32 v97, v98, v142
	s_delay_alu instid0(VALU_DEP_2) | instskip(SKIP_2) | instid1(VALU_DEP_3)
	v_dual_mul_f32 v89, 0xbf737871, v96 :: v_dual_mul_f32 v92, 0xbf737871, v85
	v_mul_f32_e32 v85, 0xbe9e377a, v85
	v_mul_f32_e32 v96, 0x3e9e377a, v96
	v_dual_add_f32 v118, v3, v88 :: v_dual_fmac_f32 v89, 0x3e9e377a, v107
	s_delay_alu instid0(VALU_DEP_4) | instskip(NEXT) | instid1(VALU_DEP_4)
	v_fmac_f32_e32 v92, 0xbe9e377a, v84
	v_fmac_f32_e32 v85, 0x3f737871, v84
	v_mul_f32_e32 v84, 0xbf4f1bbd, v106
	v_fmac_f32_e32 v96, 0x3f737871, v107
	v_dual_sub_f32 v107, v2, v111 :: v_dual_sub_f32 v2, v145, v157
	v_add_f32_e32 v112, v100, v89
	s_delay_alu instid0(VALU_DEP_4) | instskip(SKIP_3) | instid1(VALU_DEP_4)
	v_fmac_f32_e32 v84, 0x3f167918, v102
	v_dual_sub_f32 v102, v1, v93 :: v_dual_add_f32 v1, v148, v152
	v_add_f32_e32 v114, v83, v92
	v_add_f32_e32 v115, v103, v85
	v_dual_add_f32 v105, v82, v84 :: v_dual_sub_f32 v106, v0, v101
	s_delay_alu instid0(VALU_DEP_4)
	v_fma_f32 v1, -0.5, v1, v80
	v_sub_f32_e32 v108, v3, v88
	v_sub_f32_e32 v110, v100, v89
	;; [unrolled: 1-line block ×5, first 2 shown]
	v_dual_fmamk_f32 v3, v2, 0xbf737871, v1 :: v_dual_sub_f32 v82, v149, v153
	v_sub_f32_e32 v83, v144, v148
	v_dual_sub_f32 v84, v156, v152 :: v_dual_fmac_f32 v1, 0x3f737871, v2
	s_delay_alu instid0(VALU_DEP_3) | instskip(SKIP_1) | instid1(VALU_DEP_3)
	v_dual_add_f32 v0, v80, v144 :: v_dual_fmac_f32 v3, 0xbf167918, v82
	v_sub_f32_e32 v85, v152, v156
	v_add_f32_e32 v83, v83, v84
	s_delay_alu instid0(VALU_DEP_4) | instskip(SKIP_1) | instid1(VALU_DEP_3)
	v_dual_fmac_f32 v1, 0x3f167918, v82 :: v_dual_sub_f32 v84, v148, v144
	v_dual_sub_f32 v88, v157, v153 :: v_dual_add_f32 v113, v146, v96
	v_fmac_f32_e32 v3, 0x3e9e377a, v83
	s_delay_alu instid0(VALU_DEP_3) | instskip(SKIP_4) | instid1(VALU_DEP_4)
	v_fmac_f32_e32 v1, 0x3e9e377a, v83
	v_add_f32_e32 v83, v144, v156
	v_add_f32_e32 v84, v84, v85
	v_sub_f32_e32 v85, v145, v149
	v_dual_sub_f32 v111, v146, v96 :: v_dual_sub_f32 v92, v95, v99
	v_fma_f32 v80, -0.5, v83, v80
	v_sub_f32_e32 v93, v90, v94
	s_delay_alu instid0(VALU_DEP_4)
	v_add_f32_e32 v85, v85, v88
	v_sub_f32_e32 v88, v153, v157
	v_sub_f32_e32 v96, v142, v98
	v_fmamk_f32 v83, v82, 0x3f737871, v80
	v_fmac_f32_e32 v80, 0xbf737871, v82
	v_add_f32_e32 v82, v149, v153
	v_add_f32_e32 v0, v0, v148
	v_add_f32_e32 v93, v93, v96
	v_fmac_f32_e32 v83, 0xbf167918, v2
	v_fmac_f32_e32 v80, 0x3f167918, v2
	v_fma_f32 v140, -0.5, v82, v81
	v_sub_f32_e32 v82, v144, v156
	s_delay_alu instid0(VALU_DEP_4) | instskip(NEXT) | instid1(VALU_DEP_4)
	v_dual_add_f32 v2, v81, v145 :: v_dual_fmac_f32 v83, 0x3e9e377a, v84
	v_fmac_f32_e32 v80, 0x3e9e377a, v84
	s_delay_alu instid0(VALU_DEP_3) | instskip(SKIP_3) | instid1(VALU_DEP_4)
	v_dual_sub_f32 v84, v148, v152 :: v_dual_fmamk_f32 v89, v82, 0x3f737871, v140
	v_fmac_f32_e32 v140, 0xbf737871, v82
	v_sub_f32_e32 v96, v94, v90
	v_add_f32_e32 v0, v0, v152
	v_dual_add_f32 v2, v2, v149 :: v_dual_fmac_f32 v89, 0x3f167918, v84
	s_delay_alu instid0(VALU_DEP_4) | instskip(NEXT) | instid1(VALU_DEP_4)
	v_fmac_f32_e32 v140, 0xbf167918, v84
	v_add_f32_e32 v96, v96, v97
	s_delay_alu instid0(VALU_DEP_4) | instskip(NEXT) | instid1(VALU_DEP_4)
	v_add_f32_e32 v0, v0, v156
	v_add_f32_e32 v2, v2, v153
	v_fmac_f32_e32 v89, 0x3e9e377a, v85
	v_fmac_f32_e32 v140, 0x3e9e377a, v85
	v_dual_add_f32 v85, v145, v157 :: v_dual_add_nc_u32 v152, 0x4c00, v160
	s_delay_alu instid0(VALU_DEP_4) | instskip(NEXT) | instid1(VALU_DEP_2)
	v_dual_add_f32 v2, v2, v157 :: v_dual_add_nc_u32 v157, 0x3000, v160
	v_dual_fmac_f32 v81, -0.5, v85 :: v_dual_add_nc_u32 v156, 0x4000, v160
	v_sub_f32_e32 v85, v149, v145
	v_add_nc_u32_e32 v153, 0x5000, v160
	s_delay_alu instid0(VALU_DEP_3) | instskip(SKIP_1) | instid1(VALU_DEP_4)
	v_fmamk_f32 v141, v84, 0xbf737871, v81
	v_fmac_f32_e32 v81, 0x3f737871, v84
	v_dual_add_f32 v85, v85, v88 :: v_dual_add_f32 v84, v94, v98
	s_delay_alu instid0(VALU_DEP_3) | instskip(NEXT) | instid1(VALU_DEP_3)
	v_fmac_f32_e32 v141, 0x3f167918, v82
	v_fmac_f32_e32 v81, 0xbf167918, v82
	s_delay_alu instid0(VALU_DEP_2) | instskip(NEXT) | instid1(VALU_DEP_2)
	v_dual_add_f32 v82, v86, v90 :: v_dual_fmac_f32 v141, 0x3e9e377a, v85
	v_fmac_f32_e32 v81, 0x3e9e377a, v85
	v_fma_f32 v85, -0.5, v84, v86
	v_sub_f32_e32 v84, v91, v143
	s_delay_alu instid0(VALU_DEP_4) | instskip(NEXT) | instid1(VALU_DEP_2)
	v_add_f32_e32 v82, v82, v94
	v_fmamk_f32 v88, v84, 0xbf737871, v85
	s_delay_alu instid0(VALU_DEP_2) | instskip(NEXT) | instid1(VALU_DEP_2)
	v_dual_fmac_f32 v85, 0x3f737871, v84 :: v_dual_add_f32 v82, v82, v98
	v_fmac_f32_e32 v88, 0xbf167918, v92
	s_delay_alu instid0(VALU_DEP_2) | instskip(NEXT) | instid1(VALU_DEP_2)
	v_dual_fmac_f32 v85, 0x3f167918, v92 :: v_dual_add_f32 v82, v82, v142
	v_fmac_f32_e32 v88, 0x3e9e377a, v93
	s_delay_alu instid0(VALU_DEP_2) | instskip(NEXT) | instid1(VALU_DEP_2)
	v_fmac_f32_e32 v85, 0x3e9e377a, v93
	v_dual_add_f32 v93, v90, v142 :: v_dual_mul_f32 v148, 0x3f167918, v88
	s_delay_alu instid0(VALU_DEP_1) | instskip(NEXT) | instid1(VALU_DEP_1)
	v_fma_f32 v86, -0.5, v93, v86
	v_fmamk_f32 v93, v92, 0x3f737871, v86
	v_fmac_f32_e32 v86, 0xbf737871, v92
	v_sub_f32_e32 v92, v94, v98
	s_delay_alu instid0(VALU_DEP_3) | instskip(NEXT) | instid1(VALU_DEP_3)
	v_dual_sub_f32 v94, v91, v95 :: v_dual_fmac_f32 v93, 0xbf167918, v84
	v_fmac_f32_e32 v86, 0x3f167918, v84
	s_delay_alu instid0(VALU_DEP_2) | instskip(NEXT) | instid1(VALU_DEP_2)
	v_dual_add_f32 v84, v87, v91 :: v_dual_fmac_f32 v93, 0x3e9e377a, v96
	v_fmac_f32_e32 v86, 0x3e9e377a, v96
	s_delay_alu instid0(VALU_DEP_2) | instskip(SKIP_1) | instid1(VALU_DEP_2)
	v_add_f32_e32 v84, v84, v95
	v_sub_f32_e32 v96, v143, v99
	v_add_f32_e32 v84, v84, v99
	s_delay_alu instid0(VALU_DEP_2) | instskip(SKIP_1) | instid1(VALU_DEP_3)
	v_add_f32_e32 v94, v94, v96
	v_add_f32_e32 v96, v0, v82
	;; [unrolled: 1-line block ×3, first 2 shown]
	s_delay_alu instid0(VALU_DEP_1) | instskip(NEXT) | instid1(VALU_DEP_1)
	v_dual_add_f32 v84, v95, v99 :: v_dual_add_f32 v97, v2, v144
	v_fma_f32 v145, -0.5, v84, v87
	v_sub_f32_e32 v84, v90, v142
	s_delay_alu instid0(VALU_DEP_1) | instskip(SKIP_1) | instid1(VALU_DEP_2)
	v_fmamk_f32 v90, v84, 0x3f737871, v145
	v_fmac_f32_e32 v145, 0xbf737871, v84
	v_fmac_f32_e32 v90, 0x3f167918, v92
	s_delay_alu instid0(VALU_DEP_2) | instskip(NEXT) | instid1(VALU_DEP_2)
	v_fmac_f32_e32 v145, 0xbf167918, v92
	v_fmac_f32_e32 v90, 0x3e9e377a, v94
	s_delay_alu instid0(VALU_DEP_2) | instskip(NEXT) | instid1(VALU_DEP_2)
	v_dual_fmac_f32 v145, 0x3e9e377a, v94 :: v_dual_add_f32 v94, v91, v143
	v_dual_sub_f32 v91, v95, v91 :: v_dual_fmac_f32 v148, 0x3f4f1bbd, v90
	s_delay_alu instid0(VALU_DEP_2) | instskip(NEXT) | instid1(VALU_DEP_3)
	v_mul_f32_e32 v147, 0xbf167918, v145
	v_dual_fmac_f32 v87, -0.5, v94 :: v_dual_sub_f32 v94, v99, v143
	v_mul_f32_e32 v145, 0xbf4f1bbd, v145
	s_delay_alu instid0(VALU_DEP_4) | instskip(NEXT) | instid1(VALU_DEP_4)
	v_add_f32_e32 v99, v89, v148
	v_fmac_f32_e32 v147, 0xbf4f1bbd, v85
	s_delay_alu instid0(VALU_DEP_4)
	v_fmamk_f32 v142, v92, 0xbf737871, v87
	v_fmac_f32_e32 v87, 0x3f737871, v92
	v_add_f32_e32 v91, v91, v94
	v_fmac_f32_e32 v145, 0x3f167918, v85
	v_sub_f32_e32 v89, v89, v148
	v_fmac_f32_e32 v142, 0x3f167918, v84
	v_dual_fmac_f32 v87, 0xbf167918, v84 :: v_dual_add_f32 v84, v1, v147
	s_delay_alu instid0(VALU_DEP_2) | instskip(NEXT) | instid1(VALU_DEP_2)
	v_dual_add_f32 v85, v140, v145 :: v_dual_fmac_f32 v142, 0x3e9e377a, v91
	v_fmac_f32_e32 v87, 0x3e9e377a, v91
	v_mul_f32_e32 v91, 0xbf167918, v90
	s_delay_alu instid0(VALU_DEP_2) | instskip(SKIP_2) | instid1(VALU_DEP_4)
	v_dual_mul_f32 v143, 0xbf737871, v142 :: v_dual_mul_f32 v146, 0xbf737871, v87
	v_mul_f32_e32 v149, 0xbe9e377a, v87
	v_mul_f32_e32 v142, 0x3e9e377a, v142
	v_fmac_f32_e32 v91, 0x3f4f1bbd, v88
	s_delay_alu instid0(VALU_DEP_4)
	v_fmac_f32_e32 v143, 0x3e9e377a, v93
	v_fmac_f32_e32 v146, 0xbe9e377a, v86
	;; [unrolled: 1-line block ×3, first 2 shown]
	v_sub_f32_e32 v86, v0, v82
	scratch_load_b32 v0, off, off offset:492 ; 4-byte Folded Reload
	s_waitcnt vmcnt(0)
	ds_store_b128 v0, v[128:131]
	ds_store_b128 v0, v[124:127] offset:16
	ds_store_b128 v0, v[120:123] offset:32
	;; [unrolled: 1-line block ×4, first 2 shown]
	scratch_load_b32 v0, off, off offset:440 ; 4-byte Folded Reload
	s_waitcnt vmcnt(0)
	ds_store_b128 v0, v[116:119]
	ds_store_b128 v0, v[112:115] offset:16
	ds_store_b128 v0, v[104:107] offset:32
	;; [unrolled: 1-line block ×4, first 2 shown]
	scratch_load_b32 v0, off, off offset:312 ; 4-byte Folded Reload
	v_fmac_f32_e32 v142, 0x3f737871, v93
	v_add_f32_e32 v98, v3, v91
	v_add_f32_e32 v92, v83, v143
	v_dual_add_f32 v94, v80, v146 :: v_dual_add_f32 v95, v81, v149
	s_delay_alu instid0(VALU_DEP_4)
	v_add_f32_e32 v93, v141, v142
	v_dual_sub_f32 v87, v2, v144 :: v_dual_sub_f32 v88, v3, v91
	v_dual_sub_f32 v90, v83, v143 :: v_dual_sub_f32 v91, v141, v142
	v_sub_f32_e32 v80, v80, v146
	v_sub_f32_e32 v82, v1, v147
	v_sub_f32_e32 v81, v81, v149
	v_sub_f32_e32 v83, v140, v145
	s_waitcnt vmcnt(0)
	ds_store_b128 v0, v[96:99]
	ds_store_b128 v0, v[92:95] offset:16
	ds_store_b128 v0, v[84:87] offset:32
	;; [unrolled: 1-line block ×4, first 2 shown]
	s_waitcnt lgkmcnt(0)
	s_barrier
	buffer_gl0_inv
	ds_load_2addr_b64 v[88:91], v160 offset1:96
	ds_load_2addr_b64 v[80:83], v155 offset0:128 offset1:224
	ds_load_2addr_b64 v[98:101], v167 offset0:64 offset1:160
	;; [unrolled: 1-line block ×4, first 2 shown]
	ds_load_2addr_b64 v[122:125], v215 offset1:96
	ds_load_2addr_b64 v[110:113], v151 offset0:64 offset1:160
	ds_load_2addr_b64 v[115:118], v157 offset1:96
	ds_load_2addr_b64 v[126:129], v152 offset0:64 offset1:160
	ds_load_2addr_b64 v[84:87], v150 offset0:64 offset1:160
	;; [unrolled: 1-line block ×4, first 2 shown]
	ds_load_2addr_b64 v[138:141], v199 offset1:96
	scratch_load_b64 v[1:2], off, off offset:336 ; 8-byte Folded Reload
	ds_load_2addr_b64 v[142:145], v154 offset0:64 offset1:160
	ds_load_2addr_b64 v[146:149], v153 offset0:128 offset1:224
	s_waitcnt lgkmcnt(13)
	v_mul_f32_e32 v92, v13, v83
	v_mul_f32_e32 v0, v13, v82
	s_waitcnt lgkmcnt(12)
	v_mul_f32_e32 v96, v15, v99
	s_waitcnt lgkmcnt(10)
	v_mul_f32_e32 v97, v11, v107
	v_dual_mul_f32 v13, v31, v101 :: v_dual_fmac_f32 v92, v12, v82
	v_fma_f32 v12, v12, v83, -v0
	v_mul_f32_e32 v0, v15, v98
	v_fmac_f32_e32 v96, v14, v98
	v_dual_mul_f32 v82, v9, v105 :: v_dual_fmac_f32 v97, v10, v106
	v_mul_f32_e32 v15, v27, v109
	s_delay_alu instid0(VALU_DEP_4) | instskip(SKIP_1) | instid1(VALU_DEP_4)
	v_fma_f32 v98, v14, v99, -v0
	v_mul_f32_e32 v0, v9, v104
	v_fmac_f32_e32 v82, v8, v104
	v_fmac_f32_e32 v13, v30, v100
	;; [unrolled: 1-line block ×3, first 2 shown]
	s_delay_alu instid0(VALU_DEP_4) | instskip(SKIP_3) | instid1(VALU_DEP_2)
	v_fma_f32 v93, v8, v105, -v0
	v_mul_f32_e32 v0, v11, v106
	s_waitcnt lgkmcnt(8)
	v_mul_f32_e32 v8, v29, v111
	v_fma_f32 v99, v10, v107, -v0
	s_waitcnt lgkmcnt(7)
	v_mul_f32_e32 v10, v25, v116
	s_delay_alu instid0(VALU_DEP_2) | instskip(SKIP_1) | instid1(VALU_DEP_2)
	v_dual_fmac_f32 v8, v28, v110 :: v_dual_sub_f32 v3, v98, v99
	s_waitcnt vmcnt(0)
	v_dual_fmac_f32 v10, v24, v115 :: v_dual_mul_f32 v83, v2, v125
	v_mul_f32_e32 v0, v2, v124
	s_delay_alu instid0(VALU_DEP_2) | instskip(NEXT) | instid1(VALU_DEP_2)
	v_fmac_f32_e32 v83, v1, v124
	v_fma_f32 v94, v1, v125, -v0
	scratch_load_b64 v[1:2], off, off offset:328 ; 8-byte Folded Reload
	v_mul_f32_e32 v0, v29, v110
	s_waitcnt lgkmcnt(1)
	v_mul_f32_e32 v110, v57, v145
	s_delay_alu instid0(VALU_DEP_2) | instskip(SKIP_4) | instid1(VALU_DEP_4)
	v_fma_f32 v9, v28, v111, -v0
	v_mul_f32_e32 v0, v31, v100
	v_mul_f32_e32 v31, v39, v137
	;; [unrolled: 1-line block ×3, first 2 shown]
	v_fmac_f32_e32 v110, v56, v144
	v_fma_f32 v14, v30, v101, -v0
	v_mul_f32_e32 v0, v25, v115
	v_mul_f32_e32 v25, v21, v113
	v_fmac_f32_e32 v31, v38, v136
	v_dual_fmac_f32 v28, v46, v132 :: v_dual_mul_f32 v115, v59, v123
	s_delay_alu instid0(VALU_DEP_4) | instskip(SKIP_4) | instid1(VALU_DEP_4)
	v_fma_f32 v11, v24, v116, -v0
	v_mul_f32_e32 v0, v27, v108
	v_fmac_f32_e32 v25, v20, v112
	v_mul_f32_e32 v27, v19, v135
	v_dual_fmac_f32 v115, v58, v122 :: v_dual_mul_f32 v108, v69, v141
	v_fma_f32 v24, v26, v109, -v0
	s_delay_alu instid0(VALU_DEP_3) | instskip(NEXT) | instid1(VALU_DEP_3)
	v_dual_mul_f32 v26, v23, v131 :: v_dual_fmac_f32 v27, v18, v134
	v_fmac_f32_e32 v108, v68, v140
	s_delay_alu instid0(VALU_DEP_2) | instskip(SKIP_3) | instid1(VALU_DEP_2)
	v_fmac_f32_e32 v26, v22, v130
	s_waitcnt vmcnt(0)
	v_mul_f32_e32 v95, v2, v127
	v_mul_f32_e32 v0, v2, v126
	v_fmac_f32_e32 v95, v1, v126
	s_delay_alu instid0(VALU_DEP_2) | instskip(SKIP_3) | instid1(VALU_DEP_2)
	v_fma_f32 v116, v1, v127, -v0
	scratch_load_b64 v[1:2], off, off offset:348 ; 8-byte Folded Reload
	v_mul_f32_e32 v0, v21, v112
	v_dual_mul_f32 v21, v17, v118 :: v_dual_mul_f32 v112, v71, v103
	v_fma_f32 v20, v20, v113, -v0
	s_delay_alu instid0(VALU_DEP_2) | instskip(NEXT) | instid1(VALU_DEP_3)
	v_dual_mul_f32 v0, v23, v130 :: v_dual_fmac_f32 v21, v16, v117
	v_fmac_f32_e32 v112, v70, v102
	s_delay_alu instid0(VALU_DEP_2) | instskip(SKIP_1) | instid1(VALU_DEP_1)
	v_fma_f32 v23, v22, v131, -v0
	v_mul_f32_e32 v0, v17, v117
	v_fma_f32 v22, v16, v118, -v0
	v_mul_f32_e32 v0, v19, v134
	v_mul_f32_e32 v16, v45, v139
	s_delay_alu instid0(VALU_DEP_2) | instskip(SKIP_1) | instid1(VALU_DEP_3)
	v_fma_f32 v29, v18, v135, -v0
	v_mul_f32_e32 v18, v37, v143
	v_fmac_f32_e32 v16, v44, v138
	s_delay_alu instid0(VALU_DEP_2) | instskip(SKIP_3) | instid1(VALU_DEP_2)
	v_fmac_f32_e32 v18, v36, v142
	s_waitcnt vmcnt(0)
	v_mul_f32_e32 v118, v2, v129
	v_mul_f32_e32 v0, v2, v128
	v_fmac_f32_e32 v118, v1, v128
	s_delay_alu instid0(VALU_DEP_2) | instskip(SKIP_2) | instid1(VALU_DEP_1)
	v_fma_f32 v119, v1, v129, -v0
	scratch_load_b64 v[1:2], off, off offset:368 ; 8-byte Folded Reload
	v_mul_f32_e32 v0, v45, v138
	v_fma_f32 v17, v44, v139, -v0
	v_mul_f32_e32 v0, v47, v132
	v_add_f32_e32 v44, v82, v83
	s_delay_alu instid0(VALU_DEP_2) | instskip(SKIP_2) | instid1(VALU_DEP_2)
	v_fma_f32 v30, v46, v133, -v0
	v_dual_mul_f32 v0, v37, v142 :: v_dual_add_f32 v37, v98, v99
	v_add_f32_e32 v46, v93, v94
	v_fma_f32 v19, v36, v143, -v0
	v_mul_f32_e32 v0, v39, v136
	s_delay_alu instid0(VALU_DEP_4) | instskip(NEXT) | instid1(VALU_DEP_2)
	v_fma_f32 v37, -0.5, v37, v89
	v_fma_f32 v113, v38, v137, -v0
	v_sub_f32_e32 v38, v96, v97
	s_delay_alu instid0(VALU_DEP_1) | instskip(SKIP_4) | instid1(VALU_DEP_1)
	v_fmamk_f32 v39, v38, 0x3f5db3d7, v37
	v_fmac_f32_e32 v37, 0xbf5db3d7, v38
	v_add_f32_e32 v38, v92, v82
	v_fmac_f32_e32 v92, -0.5, v44
	v_sub_f32_e32 v44, v93, v94
	v_dual_add_f32 v38, v38, v83 :: v_dual_fmamk_f32 v45, v44, 0xbf5db3d7, v92
	v_fmac_f32_e32 v92, 0x3f5db3d7, v44
	v_add_f32_e32 v44, v12, v93
	v_fmac_f32_e32 v12, -0.5, v46
	v_sub_f32_e32 v46, v82, v83
	s_delay_alu instid0(VALU_DEP_1) | instskip(SKIP_1) | instid1(VALU_DEP_2)
	v_dual_add_f32 v44, v44, v94 :: v_dual_fmamk_f32 v47, v46, 0x3f5db3d7, v12
	v_fmac_f32_e32 v12, 0xbf5db3d7, v46
	v_mul_f32_e32 v46, 0xbf5db3d7, v47
	s_delay_alu instid0(VALU_DEP_1) | instskip(NEXT) | instid1(VALU_DEP_1)
	v_dual_mul_f32 v47, 0.5, v47 :: v_dual_fmac_f32 v46, 0.5, v45
	v_fmac_f32_e32 v47, 0x3f5db3d7, v45
	s_delay_alu instid0(VALU_DEP_1) | instskip(SKIP_3) | instid1(VALU_DEP_2)
	v_add_f32_e32 v101, v39, v47
	s_waitcnt vmcnt(0) lgkmcnt(0)
	v_mul_f32_e32 v120, v2, v147
	v_mul_f32_e32 v0, v2, v146
	v_fmac_f32_e32 v120, v1, v146
	s_delay_alu instid0(VALU_DEP_2)
	v_fma_f32 v121, v1, v147, -v0
	scratch_load_b64 v[1:2], off, off offset:444 ; 8-byte Folded Reload
	v_mul_f32_e32 v0, v69, v140
	s_waitcnt vmcnt(0)
	s_barrier
	buffer_gl0_inv
	v_fma_f32 v109, v68, v141, -v0
	v_mul_f32_e32 v0, v71, v102
	s_delay_alu instid0(VALU_DEP_1) | instskip(SKIP_1) | instid1(VALU_DEP_1)
	v_fma_f32 v114, v70, v103, -v0
	v_dual_mul_f32 v0, v57, v144 :: v_dual_sub_f32 v103, v39, v47
	v_fma_f32 v111, v56, v145, -v0
	v_mul_f32_e32 v0, v59, v122
	v_mul_f32_e32 v56, 0xbf5db3d7, v12
	v_mul_f32_e32 v12, -0.5, v12
	s_delay_alu instid0(VALU_DEP_3) | instskip(NEXT) | instid1(VALU_DEP_3)
	v_fma_f32 v117, v58, v123, -v0
	v_fmac_f32_e32 v56, -0.5, v92
	s_delay_alu instid0(VALU_DEP_3) | instskip(NEXT) | instid1(VALU_DEP_1)
	v_fmac_f32_e32 v12, 0x3f5db3d7, v92
	v_dual_sub_f32 v105, v37, v12 :: v_dual_mul_f32 v122, v2, v149
	v_mul_f32_e32 v0, v2, v148
	v_add_f32_e32 v2, v96, v97
	s_delay_alu instid0(VALU_DEP_3) | instskip(NEXT) | instid1(VALU_DEP_3)
	v_fmac_f32_e32 v122, v1, v148
	v_fma_f32 v0, v1, v149, -v0
	s_delay_alu instid0(VALU_DEP_3) | instskip(NEXT) | instid1(VALU_DEP_1)
	v_fma_f32 v2, -0.5, v2, v88
	v_dual_add_f32 v1, v88, v96 :: v_dual_fmamk_f32 v36, v3, 0xbf5db3d7, v2
	v_dual_fmac_f32 v2, 0x3f5db3d7, v3 :: v_dual_add_f32 v3, v89, v98
	s_delay_alu instid0(VALU_DEP_2) | instskip(NEXT) | instid1(VALU_DEP_3)
	v_add_f32_e32 v1, v1, v97
	v_dual_add_f32 v97, v37, v12 :: v_dual_add_f32 v100, v36, v46
	s_delay_alu instid0(VALU_DEP_3) | instskip(SKIP_3) | instid1(VALU_DEP_4)
	v_dual_add_f32 v96, v2, v56 :: v_dual_add_f32 v3, v3, v99
	v_sub_f32_e32 v104, v2, v56
	v_add_f32_e32 v2, v13, v15
	v_add_f32_e32 v98, v1, v38
	v_dual_sub_f32 v106, v1, v38 :: v_dual_add_f32 v99, v3, v44
	v_sub_f32_e32 v107, v3, v44
	s_delay_alu instid0(VALU_DEP_4) | instskip(SKIP_3) | instid1(VALU_DEP_3)
	v_fma_f32 v2, -0.5, v2, v90
	v_sub_f32_e32 v3, v14, v24
	v_add_f32_e32 v1, v90, v13
	v_dual_sub_f32 v13, v13, v15 :: v_dual_sub_f32 v102, v36, v46
	v_fmamk_f32 v12, v3, 0xbf5db3d7, v2
	v_dual_fmac_f32 v2, 0x3f5db3d7, v3 :: v_dual_add_f32 v3, v91, v14
	s_delay_alu instid0(VALU_DEP_4) | instskip(SKIP_1) | instid1(VALU_DEP_3)
	v_dual_add_f32 v14, v14, v24 :: v_dual_add_f32 v1, v1, v15
	v_add_f32_e32 v15, v10, v95
	v_add_f32_e32 v3, v3, v24
	s_delay_alu instid0(VALU_DEP_3) | instskip(NEXT) | instid1(VALU_DEP_1)
	v_fmac_f32_e32 v91, -0.5, v14
	v_fmamk_f32 v14, v13, 0x3f5db3d7, v91
	v_fmac_f32_e32 v91, 0xbf5db3d7, v13
	v_dual_add_f32 v13, v8, v10 :: v_dual_fmac_f32 v8, -0.5, v15
	v_dual_sub_f32 v15, v11, v116 :: v_dual_sub_f32 v10, v10, v95
	s_delay_alu instid0(VALU_DEP_1) | instskip(SKIP_2) | instid1(VALU_DEP_3)
	v_dual_add_f32 v13, v13, v95 :: v_dual_fmamk_f32 v24, v15, 0xbf5db3d7, v8
	v_fmac_f32_e32 v8, 0x3f5db3d7, v15
	v_add_f32_e32 v15, v9, v11
	v_dual_add_f32 v11, v11, v116 :: v_dual_add_f32 v92, v1, v13
	v_dual_sub_f32 v88, v1, v13 :: v_dual_add_f32 v1, v84, v26
	s_delay_alu instid0(VALU_DEP_3) | instskip(NEXT) | instid1(VALU_DEP_3)
	v_add_f32_e32 v15, v15, v116
	v_fmac_f32_e32 v9, -0.5, v11
	s_delay_alu instid0(VALU_DEP_3) | instskip(NEXT) | instid1(VALU_DEP_3)
	v_add_f32_e32 v1, v1, v27
	v_add_f32_e32 v93, v3, v15
	s_delay_alu instid0(VALU_DEP_3) | instskip(SKIP_2) | instid1(VALU_DEP_3)
	v_fmamk_f32 v11, v10, 0x3f5db3d7, v9
	v_fmac_f32_e32 v9, 0xbf5db3d7, v10
	v_sub_f32_e32 v89, v3, v15
	v_dual_sub_f32 v3, v23, v29 :: v_dual_mul_f32 v10, 0xbf5db3d7, v11
	s_delay_alu instid0(VALU_DEP_3) | instskip(SKIP_1) | instid1(VALU_DEP_3)
	v_mul_f32_e32 v36, 0xbf5db3d7, v9
	v_mul_f32_e32 v9, -0.5, v9
	v_dual_mul_f32 v11, 0.5, v11 :: v_dual_fmac_f32 v10, 0.5, v24
	s_delay_alu instid0(VALU_DEP_3) | instskip(NEXT) | instid1(VALU_DEP_3)
	v_fmac_f32_e32 v36, -0.5, v8
	v_fmac_f32_e32 v9, 0x3f5db3d7, v8
	s_delay_alu instid0(VALU_DEP_3) | instskip(NEXT) | instid1(VALU_DEP_2)
	v_dual_fmac_f32 v11, 0x3f5db3d7, v24 :: v_dual_add_f32 v94, v12, v10
	v_dual_sub_f32 v68, v12, v10 :: v_dual_add_f32 v83, v91, v9
	v_sub_f32_e32 v71, v91, v9
	v_dual_add_f32 v9, v23, v29 :: v_dual_sub_f32 v10, v26, v27
	s_delay_alu instid0(VALU_DEP_4) | instskip(SKIP_1) | instid1(VALU_DEP_3)
	v_dual_add_f32 v12, v21, v118 :: v_dual_add_f32 v95, v14, v11
	v_sub_f32_e32 v69, v14, v11
	v_fma_f32 v9, -0.5, v9, v85
	v_add_f32_e32 v14, v22, v119
	v_add_f32_e32 v82, v2, v36
	v_sub_f32_e32 v70, v2, v36
	v_add_f32_e32 v2, v26, v27
	v_fmamk_f32 v11, v10, 0x3f5db3d7, v9
	v_dual_fmac_f32 v9, 0xbf5db3d7, v10 :: v_dual_add_f32 v10, v25, v21
	v_dual_fmac_f32 v25, -0.5, v12 :: v_dual_sub_f32 v12, v22, v119
	s_delay_alu instid0(VALU_DEP_4) | instskip(NEXT) | instid1(VALU_DEP_2)
	v_fma_f32 v2, -0.5, v2, v84
	v_dual_add_f32 v10, v10, v118 :: v_dual_fmamk_f32 v13, v12, 0xbf5db3d7, v25
	v_dual_fmac_f32 v25, 0x3f5db3d7, v12 :: v_dual_add_f32 v12, v20, v22
	v_fmac_f32_e32 v20, -0.5, v14
	v_sub_f32_e32 v14, v21, v118
	v_fmamk_f32 v8, v3, 0xbf5db3d7, v2
	v_fmac_f32_e32 v2, 0x3f5db3d7, v3
	v_add_f32_e32 v3, v85, v23
	s_delay_alu instid0(VALU_DEP_4) | instskip(SKIP_1) | instid1(VALU_DEP_3)
	v_dual_add_f32 v12, v12, v119 :: v_dual_fmamk_f32 v15, v14, 0x3f5db3d7, v20
	v_fmac_f32_e32 v20, 0xbf5db3d7, v14
	v_dual_add_f32 v56, v1, v10 :: v_dual_add_f32 v3, v3, v29
	v_sub_f32_e32 v46, v1, v10
	s_delay_alu instid0(VALU_DEP_3) | instskip(SKIP_1) | instid1(VALU_DEP_4)
	v_dual_mul_f32 v14, 0xbf5db3d7, v15 :: v_dual_mul_f32 v21, 0xbf5db3d7, v20
	v_mul_f32_e32 v15, 0.5, v15
	v_add_f32_e32 v57, v3, v12
	s_delay_alu instid0(VALU_DEP_3) | instskip(NEXT) | instid1(VALU_DEP_4)
	v_dual_sub_f32 v47, v3, v12 :: v_dual_fmac_f32 v14, 0.5, v13
	v_fmac_f32_e32 v21, -0.5, v25
	s_delay_alu instid0(VALU_DEP_4) | instskip(SKIP_1) | instid1(VALU_DEP_4)
	v_fmac_f32_e32 v15, 0x3f5db3d7, v13
	v_mul_f32_e32 v13, -0.5, v20
	v_dual_sub_f32 v3, v30, v113 :: v_dual_add_f32 v58, v8, v14
	s_delay_alu instid0(VALU_DEP_4) | instskip(SKIP_1) | instid1(VALU_DEP_4)
	v_add_f32_e32 v44, v2, v21
	v_sub_f32_e32 v38, v2, v21
	v_dual_fmac_f32 v13, 0x3f5db3d7, v25 :: v_dual_add_f32 v2, v28, v31
	v_dual_add_f32 v59, v11, v15 :: v_dual_sub_f32 v36, v8, v14
	v_sub_f32_e32 v37, v11, v15
	s_delay_alu instid0(VALU_DEP_3)
	v_add_f32_e32 v45, v9, v13
	v_sub_f32_e32 v39, v9, v13
	v_fma_f32 v2, -0.5, v2, v86
	v_add_f32_e32 v9, v30, v113
	v_add_f32_e32 v11, v18, v120
	;; [unrolled: 1-line block ×3, first 2 shown]
	s_delay_alu instid0(VALU_DEP_4) | instskip(SKIP_3) | instid1(VALU_DEP_4)
	v_dual_add_f32 v1, v86, v28 :: v_dual_fmamk_f32 v8, v3, 0xbf5db3d7, v2
	v_dual_fmac_f32 v2, 0x3f5db3d7, v3 :: v_dual_add_f32 v3, v87, v30
	v_fmac_f32_e32 v87, -0.5, v9
	v_sub_f32_e32 v9, v28, v31
	v_add_f32_e32 v1, v1, v31
	s_delay_alu instid0(VALU_DEP_2) | instskip(SKIP_3) | instid1(VALU_DEP_1)
	v_dual_add_f32 v3, v3, v113 :: v_dual_fmamk_f32 v10, v9, 0x3f5db3d7, v87
	v_fmac_f32_e32 v87, 0xbf5db3d7, v9
	v_dual_add_f32 v9, v16, v18 :: v_dual_fmac_f32 v16, -0.5, v11
	v_sub_f32_e32 v11, v19, v121
	v_dual_add_f32 v9, v9, v120 :: v_dual_fmamk_f32 v12, v11, 0xbf5db3d7, v16
	v_fmac_f32_e32 v16, 0x3f5db3d7, v11
	v_add_f32_e32 v11, v17, v19
	v_fmac_f32_e32 v17, -0.5, v13
	s_delay_alu instid0(VALU_DEP_4) | instskip(SKIP_1) | instid1(VALU_DEP_4)
	v_dual_sub_f32 v13, v18, v120 :: v_dual_add_f32 v28, v1, v9
	v_sub_f32_e32 v26, v1, v9
	v_add_f32_e32 v11, v11, v121
	s_delay_alu instid0(VALU_DEP_3) | instskip(SKIP_2) | instid1(VALU_DEP_4)
	v_dual_add_f32 v9, v114, v117 :: v_dual_fmamk_f32 v14, v13, 0x3f5db3d7, v17
	v_fmac_f32_e32 v17, 0xbf5db3d7, v13
	v_add_f32_e32 v1, v80, v112
	v_add_f32_e32 v29, v3, v11
	v_sub_f32_e32 v27, v3, v11
	v_mul_f32_e32 v13, 0xbf5db3d7, v14
	v_dual_mul_f32 v15, 0xbf5db3d7, v17 :: v_dual_mul_f32 v14, 0.5, v14
	v_sub_f32_e32 v3, v114, v117
	v_add_f32_e32 v1, v1, v115
	s_delay_alu instid0(VALU_DEP_4) | instskip(NEXT) | instid1(VALU_DEP_4)
	v_fmac_f32_e32 v13, 0.5, v12
	v_fmac_f32_e32 v15, -0.5, v16
	v_fmac_f32_e32 v14, 0x3f5db3d7, v12
	v_mul_f32_e32 v12, -0.5, v17
	s_delay_alu instid0(VALU_DEP_4) | instskip(NEXT) | instid1(VALU_DEP_4)
	v_add_f32_e32 v30, v8, v13
	v_add_f32_e32 v24, v2, v15
	v_sub_f32_e32 v22, v2, v15
	v_dual_add_f32 v2, v112, v115 :: v_dual_add_f32 v31, v10, v14
	v_dual_sub_f32 v20, v8, v13 :: v_dual_sub_f32 v21, v10, v14
	v_add_f32_e32 v10, v110, v122
	s_delay_alu instid0(VALU_DEP_3) | instskip(SKIP_1) | instid1(VALU_DEP_2)
	v_fma_f32 v2, -0.5, v2, v80
	v_fmac_f32_e32 v12, 0x3f5db3d7, v16
	v_fmamk_f32 v8, v3, 0xbf5db3d7, v2
	v_dual_fmac_f32 v2, 0x3f5db3d7, v3 :: v_dual_add_f32 v3, v81, v114
	v_fmac_f32_e32 v81, -0.5, v9
	v_sub_f32_e32 v9, v112, v115
	v_add_f32_e32 v25, v87, v12
	v_sub_f32_e32 v23, v87, v12
	v_add_f32_e32 v3, v3, v117
	s_delay_alu instid0(VALU_DEP_4) | instskip(SKIP_3) | instid1(VALU_DEP_2)
	v_fmamk_f32 v11, v9, 0x3f5db3d7, v81
	v_fmac_f32_e32 v81, 0xbf5db3d7, v9
	v_add_f32_e32 v9, v108, v110
	v_fmac_f32_e32 v108, -0.5, v10
	v_dual_sub_f32 v10, v111, v0 :: v_dual_add_f32 v9, v9, v122
	s_delay_alu instid0(VALU_DEP_1) | instskip(SKIP_2) | instid1(VALU_DEP_4)
	v_fmamk_f32 v13, v10, 0xbf5db3d7, v108
	v_fmac_f32_e32 v108, 0x3f5db3d7, v10
	v_add_f32_e32 v10, v109, v111
	v_add_f32_e32 v16, v1, v9
	s_delay_alu instid0(VALU_DEP_2) | instskip(SKIP_1) | instid1(VALU_DEP_2)
	v_dual_sub_f32 v14, v1, v9 :: v_dual_add_f32 v15, v10, v0
	v_add_f32_e32 v0, v111, v0
	v_add_f32_e32 v17, v3, v15
	s_delay_alu instid0(VALU_DEP_2) | instskip(NEXT) | instid1(VALU_DEP_1)
	v_dual_fmac_f32 v109, -0.5, v0 :: v_dual_sub_f32 v0, v110, v122
	v_dual_sub_f32 v15, v3, v15 :: v_dual_fmamk_f32 v10, v0, 0x3f5db3d7, v109
	s_delay_alu instid0(VALU_DEP_1) | instskip(SKIP_1) | instid1(VALU_DEP_2)
	v_dual_fmac_f32 v109, 0xbf5db3d7, v0 :: v_dual_mul_f32 v0, 0xbf5db3d7, v10
	v_mul_f32_e32 v84, 0.5, v10
	v_mul_f32_e32 v80, 0xbf5db3d7, v109
	v_mul_f32_e32 v85, -0.5, v109
	s_delay_alu instid0(VALU_DEP_4) | instskip(NEXT) | instid1(VALU_DEP_4)
	v_fmac_f32_e32 v0, 0.5, v13
	v_fmac_f32_e32 v84, 0x3f5db3d7, v13
	s_delay_alu instid0(VALU_DEP_4) | instskip(NEXT) | instid1(VALU_DEP_4)
	v_fmac_f32_e32 v80, -0.5, v108
	v_fmac_f32_e32 v85, 0x3f5db3d7, v108
	s_delay_alu instid0(VALU_DEP_4)
	v_add_f32_e32 v18, v8, v0
	v_sub_f32_e32 v8, v8, v0
	scratch_load_b32 v0, off, off offset:432 ; 4-byte Folded Reload
	s_waitcnt vmcnt(0)
	ds_store_2addr_b64 v0, v[98:99], v[100:101] offset1:10
	ds_store_2addr_b64 v0, v[96:97], v[106:107] offset0:20 offset1:30
	ds_store_2addr_b64 v0, v[102:103], v[104:105] offset0:40 offset1:50
	scratch_load_b32 v0, off, off offset:404 ; 4-byte Folded Reload
	s_waitcnt vmcnt(0)
	ds_store_2addr_b64 v0, v[92:93], v[94:95] offset1:10
	ds_store_2addr_b64 v0, v[82:83], v[88:89] offset0:20 offset1:30
	ds_store_2addr_b64 v0, v[68:69], v[70:71] offset0:40 offset1:50
	;; [unrolled: 5-line block ×4, first 2 shown]
	scratch_load_b32 v0, off, off offset:344 ; 4-byte Folded Reload
	v_add_f32_e32 v19, v11, v84
	v_dual_add_f32 v12, v2, v80 :: v_dual_add_f32 v13, v81, v85
	v_sub_f32_e32 v10, v2, v80
	v_sub_f32_e32 v9, v11, v84
	;; [unrolled: 1-line block ×3, first 2 shown]
	s_waitcnt vmcnt(0)
	ds_store_2addr_b64 v0, v[16:17], v[18:19] offset1:10
	ds_store_2addr_b64 v0, v[12:13], v[14:15] offset0:20 offset1:30
	ds_store_2addr_b64 v0, v[8:9], v[10:11] offset0:40 offset1:50
	s_waitcnt lgkmcnt(0)
	s_barrier
	buffer_gl0_inv
	ds_load_2addr_b64 v[16:19], v160 offset1:96
	ds_load_2addr_b64 v[8:11], v155 offset0:128 offset1:224
	ds_load_2addr_b64 v[27:30], v167 offset0:64 offset1:160
	;; [unrolled: 1-line block ×4, first 2 shown]
	ds_load_2addr_b64 v[84:87], v215 offset1:96
	ds_load_2addr_b64 v[80:83], v151 offset0:64 offset1:160
	ds_load_2addr_b64 v[88:91], v157 offset1:96
	ds_load_2addr_b64 v[92:95], v152 offset0:64 offset1:160
	ds_load_2addr_b64 v[12:15], v150 offset0:64 offset1:160
	;; [unrolled: 1-line block ×4, first 2 shown]
	ds_load_2addr_b64 v[104:107], v199 offset1:96
	ds_load_2addr_b64 v[108:111], v154 offset0:64 offset1:160
	ds_load_2addr_b64 v[112:115], v153 offset0:128 offset1:224
	scratch_load_b64 v[1:2], off, off offset:316 ; 8-byte Folded Reload
	s_waitcnt lgkmcnt(13)
	v_mul_f32_e32 v20, v5, v11
	s_waitcnt lgkmcnt(12)
	v_dual_mul_f32 v0, v5, v10 :: v_dual_mul_f32 v37, v7, v28
	v_mul_f32_e32 v5, v63, v30
	s_waitcnt lgkmcnt(10)
	v_mul_f32_e32 v39, v196, v69
	v_fmac_f32_e32 v20, v4, v10
	v_fma_f32 v4, v4, v11, -v0
	v_mul_f32_e32 v0, v7, v27
	v_fmac_f32_e32 v37, v6, v27
	v_fmac_f32_e32 v5, v62, v29
	s_waitcnt lgkmcnt(3)
	v_mul_f32_e32 v31, v35, v100
	v_mul_f32_e32 v21, v41, v82
	v_fma_f32 v44, v6, v28, -v0
	v_dual_mul_f32 v0, v194, v58 :: v_dual_mul_f32 v23, v43, v96
	s_delay_alu instid0(VALU_DEP_4) | instskip(NEXT) | instid1(VALU_DEP_4)
	v_fma_f32 v31, v34, v101, -v31
	v_fma_f32 v21, v40, v83, -v21
	v_mul_f32_e32 v25, v33, v90
	s_delay_alu instid0(VALU_DEP_4) | instskip(SKIP_2) | instid1(VALU_DEP_4)
	v_fma_f32 v26, v193, v59, -v0
	v_dual_mul_f32 v0, v196, v68 :: v_dual_mul_f32 v7, v51, v71
	v_mul_f32_e32 v10, v51, v70
	v_fma_f32 v25, v32, v91, -v25
	v_fmac_f32_e32 v39, v195, v68
	s_delay_alu instid0(VALU_DEP_4)
	v_fma_f32 v45, v195, v69, -v0
	v_dual_fmac_f32 v7, v50, v70 :: v_dual_mul_f32 v68, v67, v99
	v_fma_f32 v10, v50, v71, -v10
	s_waitcnt lgkmcnt(1)
	v_mul_f32_e32 v69, v73, v111
	v_dual_mul_f32 v22, v194, v59 :: v_dual_mul_f32 v27, v43, v97
	v_dual_fmac_f32 v68, v66, v98 :: v_dual_mul_f32 v3, v49, v88
	s_delay_alu instid0(VALU_DEP_3) | instskip(NEXT) | instid1(VALU_DEP_3)
	v_fmac_f32_e32 v69, v72, v110
	v_dual_fmac_f32 v22, v193, v58 :: v_dual_fmac_f32 v27, v42, v96
	s_delay_alu instid0(VALU_DEP_3) | instskip(SKIP_4) | instid1(VALU_DEP_3)
	v_fma_f32 v3, v48, v89, -v3
	s_waitcnt vmcnt(0)
	v_mul_f32_e32 v24, v2, v87
	v_mul_f32_e32 v0, v2, v86
	;; [unrolled: 1-line block ×3, first 2 shown]
	v_fmac_f32_e32 v24, v1, v86
	s_delay_alu instid0(VALU_DEP_3) | instskip(NEXT) | instid1(VALU_DEP_3)
	v_fma_f32 v28, v1, v87, -v0
	v_fma_f32 v6, v62, v30, -v2
	scratch_load_b64 v[29:30], off, off offset:356 ; 8-byte Folded Reload
	v_mul_f32_e32 v1, v61, v80
	v_mul_f32_e32 v0, v61, v81
	;; [unrolled: 1-line block ×4, first 2 shown]
	s_delay_alu instid0(VALU_DEP_4) | instskip(NEXT) | instid1(VALU_DEP_4)
	v_fma_f32 v1, v60, v81, -v1
	v_fmac_f32_e32 v0, v60, v80
	s_delay_alu instid0(VALU_DEP_4) | instskip(SKIP_2) | instid1(VALU_DEP_2)
	v_fmac_f32_e32 v62, v64, v104
	v_mul_f32_e32 v80, v55, v103
	v_fmac_f32_e32 v2, v48, v88
	v_fmac_f32_e32 v80, v54, v102
	s_waitcnt vmcnt(0)
	v_mul_f32_e32 v36, v30, v93
	v_dual_mul_f32 v11, v30, v92 :: v_dual_mul_f32 v30, v35, v101
	s_delay_alu instid0(VALU_DEP_2) | instskip(NEXT) | instid1(VALU_DEP_2)
	v_fmac_f32_e32 v36, v29, v92
	v_fma_f32 v38, v29, v93, -v11
	s_delay_alu instid0(VALU_DEP_3) | instskip(SKIP_4) | instid1(VALU_DEP_3)
	v_fmac_f32_e32 v30, v34, v100
	scratch_load_b64 v[34:35], off, off offset:376 ; 8-byte Folded Reload
	v_mul_f32_e32 v11, v41, v83
	v_fma_f32 v29, v42, v97, -v23
	v_mul_f32_e32 v23, v33, v91
	v_fmac_f32_e32 v11, v40, v82
	scratch_load_b64 v[40:41], off, off offset:396 ; 8-byte Folded Reload
	s_waitcnt vmcnt(1)
	v_dual_fmac_f32 v23, v32, v90 :: v_dual_mul_f32 v32, v35, v95
	v_mul_f32_e32 v33, v35, v94
	s_delay_alu instid0(VALU_DEP_2) | instskip(NEXT) | instid1(VALU_DEP_2)
	v_dual_add_f32 v35, v37, v39 :: v_dual_fmac_f32 v32, v34, v94
	v_fma_f32 v33, v34, v95, -v33
	v_mul_f32_e32 v34, v65, v104
	s_waitcnt vmcnt(0) lgkmcnt(0)
	v_mul_f32_e32 v82, v41, v113
	s_delay_alu instid0(VALU_DEP_2) | instskip(SKIP_1) | instid1(VALU_DEP_3)
	v_fma_f32 v63, v64, v105, -v34
	v_mul_f32_e32 v34, v67, v98
	v_fmac_f32_e32 v82, v40, v112
	v_mul_f32_e32 v64, v77, v107
	s_delay_alu instid0(VALU_DEP_3) | instskip(SKIP_2) | instid1(VALU_DEP_4)
	v_fma_f32 v70, v66, v99, -v34
	v_mul_f32_e32 v34, v53, v108
	v_mul_f32_e32 v66, v53, v109
	v_fmac_f32_e32 v64, v76, v106
	s_delay_alu instid0(VALU_DEP_3) | instskip(SKIP_1) | instid1(VALU_DEP_4)
	v_fma_f32 v67, v52, v109, -v34
	v_mul_f32_e32 v34, v55, v102
	v_fmac_f32_e32 v66, v52, v108
	s_delay_alu instid0(VALU_DEP_2) | instskip(SKIP_1) | instid1(VALU_DEP_1)
	v_fma_f32 v81, v54, v103, -v34
	v_mul_f32_e32 v34, v41, v112
	v_fma_f32 v83, v40, v113, -v34
	scratch_load_b64 v[40:41], off, off offset:452 ; 8-byte Folded Reload
	v_mul_f32_e32 v34, v77, v106
	s_waitcnt vmcnt(0)
	s_barrier
	buffer_gl0_inv
	v_fma_f32 v65, v76, v107, -v34
	v_mul_f32_e32 v34, v79, v56
	v_mul_f32_e32 v76, v79, v57
	s_delay_alu instid0(VALU_DEP_2) | instskip(SKIP_1) | instid1(VALU_DEP_3)
	v_fma_f32 v77, v78, v57, -v34
	v_mul_f32_e32 v34, v73, v110
	v_fmac_f32_e32 v76, v78, v56
	s_delay_alu instid0(VALU_DEP_2) | instskip(SKIP_2) | instid1(VALU_DEP_2)
	v_fma_f32 v71, v72, v111, -v34
	v_mul_f32_e32 v34, v75, v84
	v_mul_f32_e32 v72, v75, v85
	v_fma_f32 v73, v74, v85, -v34
	s_delay_alu instid0(VALU_DEP_2) | instskip(SKIP_2) | instid1(VALU_DEP_2)
	v_fmac_f32_e32 v72, v74, v84
	v_mul_f32_e32 v34, v41, v114
	v_dual_mul_f32 v74, v41, v115 :: v_dual_add_f32 v41, v44, v45
	v_fma_f32 v75, v40, v115, -v34
	v_add_f32_e32 v34, v16, v37
	v_fma_f32 v16, -0.5, v35, v16
	v_sub_f32_e32 v35, v44, v45
	v_dual_fmac_f32 v74, v40, v114 :: v_dual_sub_f32 v37, v37, v39
	s_delay_alu instid0(VALU_DEP_4) | instskip(NEXT) | instid1(VALU_DEP_3)
	v_add_f32_e32 v34, v34, v39
	v_fmamk_f32 v40, v35, 0xbf5db3d7, v16
	v_dual_fmac_f32 v16, 0x3f5db3d7, v35 :: v_dual_add_f32 v35, v17, v44
	v_fma_f32 v17, -0.5, v41, v17
	v_add_f32_e32 v41, v22, v24
	s_delay_alu instid0(VALU_DEP_3) | instskip(NEXT) | instid1(VALU_DEP_3)
	v_add_f32_e32 v35, v35, v45
	v_fmamk_f32 v39, v37, 0x3f5db3d7, v17
	v_fmac_f32_e32 v17, 0xbf5db3d7, v37
	s_delay_alu instid0(VALU_DEP_4) | instskip(SKIP_2) | instid1(VALU_DEP_3)
	v_dual_add_f32 v37, v20, v22 :: v_dual_fmac_f32 v20, -0.5, v41
	v_sub_f32_e32 v41, v26, v28
	v_sub_f32_e32 v22, v22, v24
	v_add_f32_e32 v37, v37, v24
	s_delay_alu instid0(VALU_DEP_3) | instskip(SKIP_2) | instid1(VALU_DEP_4)
	v_fmamk_f32 v42, v41, 0xbf5db3d7, v20
	v_dual_fmac_f32 v20, 0x3f5db3d7, v41 :: v_dual_add_f32 v41, v4, v26
	v_add_f32_e32 v26, v26, v28
	v_add_f32_e32 v56, v34, v37
	s_delay_alu instid0(VALU_DEP_3) | instskip(NEXT) | instid1(VALU_DEP_1)
	v_dual_sub_f32 v60, v34, v37 :: v_dual_add_f32 v41, v41, v28
	v_dual_fmac_f32 v4, -0.5, v26 :: v_dual_add_f32 v57, v35, v41
	s_delay_alu instid0(VALU_DEP_1) | instskip(SKIP_1) | instid1(VALU_DEP_2)
	v_fmamk_f32 v24, v22, 0x3f5db3d7, v4
	v_dual_fmac_f32 v4, 0xbf5db3d7, v22 :: v_dual_sub_f32 v61, v35, v41
	v_mul_f32_e32 v22, 0xbf5db3d7, v24
	s_delay_alu instid0(VALU_DEP_2) | instskip(SKIP_2) | instid1(VALU_DEP_4)
	v_mul_f32_e32 v26, 0xbf5db3d7, v4
	v_mul_f32_e32 v4, -0.5, v4
	v_mul_f32_e32 v24, 0.5, v24
	v_fmac_f32_e32 v22, 0.5, v42
	s_delay_alu instid0(VALU_DEP_4) | instskip(NEXT) | instid1(VALU_DEP_4)
	v_fmac_f32_e32 v26, -0.5, v20
	v_fmac_f32_e32 v4, 0x3f5db3d7, v20
	s_delay_alu instid0(VALU_DEP_4) | instskip(NEXT) | instid1(VALU_DEP_4)
	v_fmac_f32_e32 v24, 0x3f5db3d7, v42
	v_add_f32_e32 v58, v40, v22
	s_delay_alu instid0(VALU_DEP_4)
	v_add_f32_e32 v54, v16, v26
	v_sub_f32_e32 v52, v16, v26
	v_add_f32_e32 v16, v5, v7
	v_add_f32_e32 v55, v17, v4
	v_sub_f32_e32 v53, v17, v4
	v_sub_f32_e32 v17, v6, v10
	v_add_f32_e32 v4, v18, v5
	v_fma_f32 v16, -0.5, v16, v18
	v_sub_f32_e32 v5, v5, v7
	v_add_f32_e32 v59, v39, v24
	s_delay_alu instid0(VALU_DEP_4) | instskip(NEXT) | instid1(VALU_DEP_4)
	v_dual_sub_f32 v51, v39, v24 :: v_dual_add_f32 v4, v4, v7
	v_fmamk_f32 v18, v17, 0xbf5db3d7, v16
	v_dual_fmac_f32 v16, 0x3f5db3d7, v17 :: v_dual_add_f32 v17, v19, v6
	v_add_f32_e32 v6, v6, v10
	v_dual_add_f32 v7, v2, v36 :: v_dual_sub_f32 v50, v40, v22
	s_delay_alu instid0(VALU_DEP_3) | instskip(NEXT) | instid1(VALU_DEP_3)
	v_add_f32_e32 v17, v17, v10
	v_fmac_f32_e32 v19, -0.5, v6
	s_delay_alu instid0(VALU_DEP_1) | instskip(SKIP_3) | instid1(VALU_DEP_1)
	v_fmamk_f32 v6, v5, 0x3f5db3d7, v19
	v_fmac_f32_e32 v19, 0xbf5db3d7, v5
	v_dual_add_f32 v5, v0, v2 :: v_dual_fmac_f32 v0, -0.5, v7
	v_dual_sub_f32 v7, v3, v38 :: v_dual_sub_f32 v2, v2, v36
	v_dual_add_f32 v5, v5, v36 :: v_dual_fmamk_f32 v10, v7, 0xbf5db3d7, v0
	v_fmac_f32_e32 v0, 0x3f5db3d7, v7
	v_add_f32_e32 v7, v1, v3
	s_delay_alu instid0(VALU_DEP_3) | instskip(SKIP_1) | instid1(VALU_DEP_3)
	v_dual_add_f32 v3, v3, v38 :: v_dual_add_f32 v46, v4, v5
	v_sub_f32_e32 v44, v4, v5
	v_dual_add_f32 v4, v29, v31 :: v_dual_add_f32 v7, v7, v38
	s_delay_alu instid0(VALU_DEP_3) | instskip(SKIP_1) | instid1(VALU_DEP_3)
	v_fmac_f32_e32 v1, -0.5, v3
	v_sub_f32_e32 v5, v27, v30
	v_fma_f32 v4, -0.5, v4, v13
	s_delay_alu instid0(VALU_DEP_4) | instskip(NEXT) | instid1(VALU_DEP_4)
	v_add_f32_e32 v47, v17, v7
	v_fmamk_f32 v3, v2, 0x3f5db3d7, v1
	v_fmac_f32_e32 v1, 0xbf5db3d7, v2
	v_sub_f32_e32 v45, v17, v7
	s_delay_alu instid0(VALU_DEP_3) | instskip(NEXT) | instid1(VALU_DEP_3)
	v_dual_add_f32 v7, v23, v32 :: v_dual_mul_f32 v2, 0xbf5db3d7, v3
	v_mul_f32_e32 v20, 0xbf5db3d7, v1
	v_mul_f32_e32 v1, -0.5, v1
	s_delay_alu instid0(VALU_DEP_3) | instskip(NEXT) | instid1(VALU_DEP_3)
	v_dual_mul_f32 v3, 0.5, v3 :: v_dual_fmac_f32 v2, 0.5, v10
	v_fmac_f32_e32 v20, -0.5, v0
	s_delay_alu instid0(VALU_DEP_3) | instskip(NEXT) | instid1(VALU_DEP_3)
	v_fmac_f32_e32 v1, 0x3f5db3d7, v0
	v_dual_fmac_f32 v3, 0x3f5db3d7, v10 :: v_dual_add_f32 v0, v12, v27
	s_delay_alu instid0(VALU_DEP_4) | instskip(NEXT) | instid1(VALU_DEP_3)
	v_add_f32_e32 v48, v18, v2
	v_dual_sub_f32 v38, v18, v2 :: v_dual_add_f32 v41, v19, v1
	v_sub_f32_e32 v43, v19, v1
	v_add_f32_e32 v1, v27, v30
	v_add_f32_e32 v49, v6, v3
	v_dual_sub_f32 v39, v6, v3 :: v_dual_fmamk_f32 v6, v5, 0x3f5db3d7, v4
	v_fmac_f32_e32 v4, 0xbf5db3d7, v5
	s_delay_alu instid0(VALU_DEP_4)
	v_fma_f32 v1, -0.5, v1, v12
	v_add_f32_e32 v5, v11, v23
	v_fmac_f32_e32 v11, -0.5, v7
	v_sub_f32_e32 v7, v25, v33
	v_add_f32_e32 v12, v25, v33
	v_sub_f32_e32 v2, v29, v31
	v_add_f32_e32 v40, v16, v20
	v_sub_f32_e32 v42, v16, v20
	v_fmamk_f32 v10, v7, 0xbf5db3d7, v11
	v_fmac_f32_e32 v11, 0x3f5db3d7, v7
	v_add_f32_e32 v7, v21, v25
	v_fmac_f32_e32 v21, -0.5, v12
	v_dual_sub_f32 v12, v23, v32 :: v_dual_fmamk_f32 v3, v2, 0xbf5db3d7, v1
	v_dual_fmac_f32 v1, 0x3f5db3d7, v2 :: v_dual_add_f32 v2, v13, v29
	v_add_f32_e32 v0, v0, v30
	s_delay_alu instid0(VALU_DEP_3) | instskip(SKIP_1) | instid1(VALU_DEP_4)
	v_fmamk_f32 v13, v12, 0x3f5db3d7, v21
	v_fmac_f32_e32 v21, 0xbf5db3d7, v12
	v_dual_add_f32 v7, v7, v33 :: v_dual_add_f32 v2, v2, v31
	s_delay_alu instid0(VALU_DEP_3) | instskip(NEXT) | instid1(VALU_DEP_3)
	v_dual_add_f32 v5, v5, v32 :: v_dual_mul_f32 v12, 0xbf5db3d7, v13
	v_mul_f32_e32 v16, 0xbf5db3d7, v21
	v_mul_f32_e32 v13, 0.5, v13
	s_delay_alu instid0(VALU_DEP_4) | instskip(NEXT) | instid1(VALU_DEP_4)
	v_add_f32_e32 v35, v2, v7
	v_dual_sub_f32 v33, v2, v7 :: v_dual_fmac_f32 v12, 0.5, v10
	s_delay_alu instid0(VALU_DEP_3) | instskip(SKIP_2) | instid1(VALU_DEP_4)
	v_dual_fmac_f32 v16, -0.5, v11 :: v_dual_fmac_f32 v13, 0x3f5db3d7, v10
	v_mul_f32_e32 v10, -0.5, v21
	v_sub_f32_e32 v2, v70, v81
	v_add_f32_e32 v36, v3, v12
	s_delay_alu instid0(VALU_DEP_4) | instskip(SKIP_4) | instid1(VALU_DEP_3)
	v_add_f32_e32 v28, v1, v16
	v_sub_f32_e32 v30, v1, v16
	v_dual_fmac_f32 v10, 0x3f5db3d7, v11 :: v_dual_add_f32 v1, v68, v80
	v_dual_add_f32 v37, v6, v13 :: v_dual_sub_f32 v26, v3, v12
	v_sub_f32_e32 v27, v6, v13
	v_add_f32_e32 v29, v4, v10
	v_sub_f32_e32 v31, v4, v10
	v_fma_f32 v1, -0.5, v1, v14
	v_add_f32_e32 v4, v70, v81
	v_add_f32_e32 v6, v66, v82
	;; [unrolled: 1-line block ×3, first 2 shown]
	s_delay_alu instid0(VALU_DEP_4)
	v_dual_sub_f32 v32, v0, v5 :: v_dual_fmamk_f32 v3, v2, 0xbf5db3d7, v1
	v_fmac_f32_e32 v1, 0x3f5db3d7, v2
	v_dual_add_f32 v2, v15, v70 :: v_dual_fmac_f32 v15, -0.5, v4
	v_sub_f32_e32 v4, v68, v80
	v_add_f32_e32 v10, v67, v83
	v_add_f32_e32 v0, v14, v68
	s_delay_alu instid0(VALU_DEP_3) | instskip(SKIP_4) | instid1(VALU_DEP_2)
	v_dual_add_f32 v2, v2, v81 :: v_dual_fmamk_f32 v5, v4, 0x3f5db3d7, v15
	v_dual_fmac_f32 v15, 0xbf5db3d7, v4 :: v_dual_add_f32 v4, v62, v66
	v_fmac_f32_e32 v62, -0.5, v6
	v_sub_f32_e32 v6, v67, v83
	v_add_f32_e32 v0, v0, v80
	v_dual_add_f32 v4, v4, v82 :: v_dual_fmamk_f32 v7, v6, 0xbf5db3d7, v62
	v_fmac_f32_e32 v62, 0x3f5db3d7, v6
	v_dual_add_f32 v6, v63, v67 :: v_dual_fmac_f32 v63, -0.5, v10
	v_sub_f32_e32 v10, v66, v82
	s_delay_alu instid0(VALU_DEP_4) | instskip(SKIP_1) | instid1(VALU_DEP_4)
	v_add_f32_e32 v22, v0, v4
	v_sub_f32_e32 v20, v0, v4
	v_add_f32_e32 v6, v6, v83
	s_delay_alu instid0(VALU_DEP_4) | instskip(SKIP_1) | instid1(VALU_DEP_3)
	v_dual_add_f32 v0, v8, v76 :: v_dual_fmamk_f32 v11, v10, 0x3f5db3d7, v63
	v_fmac_f32_e32 v63, 0xbf5db3d7, v10
	v_add_f32_e32 v23, v2, v6
	s_delay_alu instid0(VALU_DEP_3) | instskip(NEXT) | instid1(VALU_DEP_3)
	v_dual_sub_f32 v21, v2, v6 :: v_dual_mul_f32 v10, 0xbf5db3d7, v11
	v_mul_f32_e32 v12, 0xbf5db3d7, v63
	v_dual_mul_f32 v11, 0.5, v11 :: v_dual_sub_f32 v2, v77, v73
	v_add_f32_e32 v0, v0, v72
	s_delay_alu instid0(VALU_DEP_4) | instskip(NEXT) | instid1(VALU_DEP_3)
	v_fmac_f32_e32 v10, 0.5, v7
	v_dual_fmac_f32 v12, -0.5, v62 :: v_dual_fmac_f32 v11, 0x3f5db3d7, v7
	s_delay_alu instid0(VALU_DEP_2) | instskip(NEXT) | instid1(VALU_DEP_2)
	v_dual_mul_f32 v7, -0.5, v63 :: v_dual_add_f32 v24, v3, v10
	v_add_f32_e32 v18, v1, v12
	v_sub_f32_e32 v14, v1, v12
	v_add_f32_e32 v1, v76, v72
	v_add_f32_e32 v25, v5, v11
	v_sub_f32_e32 v17, v5, v11
	v_fmac_f32_e32 v7, 0x3f5db3d7, v62
	v_sub_f32_e32 v16, v3, v10
	v_fma_f32 v1, -0.5, v1, v8
	s_delay_alu instid0(VALU_DEP_3) | instskip(NEXT) | instid1(VALU_DEP_2)
	v_add_f32_e32 v19, v15, v7
	v_dual_sub_f32 v15, v15, v7 :: v_dual_fmamk_f32 v4, v2, 0xbf5db3d7, v1
	v_dual_fmac_f32 v1, 0x3f5db3d7, v2 :: v_dual_add_f32 v2, v9, v77
	s_delay_alu instid0(VALU_DEP_1) | instskip(SKIP_1) | instid1(VALU_DEP_1)
	v_add_f32_e32 v5, v2, v73
	v_add_f32_e32 v2, v77, v73
	v_dual_fmac_f32 v9, -0.5, v2 :: v_dual_sub_f32 v2, v76, v72
	v_add_nc_u32_e32 v76, 0x2400, v160
	s_delay_alu instid0(VALU_DEP_2) | instskip(SKIP_1) | instid1(VALU_DEP_1)
	v_fmamk_f32 v8, v2, 0x3f5db3d7, v9
	v_dual_fmac_f32 v9, 0xbf5db3d7, v2 :: v_dual_add_f32 v2, v64, v69
	v_add_f32_e32 v6, v2, v74
	v_add_f32_e32 v2, v69, v74
	s_delay_alu instid0(VALU_DEP_2) | instskip(NEXT) | instid1(VALU_DEP_2)
	v_add_f32_e32 v10, v0, v6
	v_fmac_f32_e32 v64, -0.5, v2
	v_sub_f32_e32 v2, v71, v75
	s_delay_alu instid0(VALU_DEP_1) | instskip(SKIP_2) | instid1(VALU_DEP_1)
	v_dual_sub_f32 v6, v0, v6 :: v_dual_fmamk_f32 v3, v2, 0xbf5db3d7, v64
	v_fmac_f32_e32 v64, 0x3f5db3d7, v2
	v_add_f32_e32 v2, v65, v71
	v_add_f32_e32 v7, v2, v75
	;; [unrolled: 1-line block ×3, first 2 shown]
	s_delay_alu instid0(VALU_DEP_2) | instskip(NEXT) | instid1(VALU_DEP_2)
	v_add_f32_e32 v11, v5, v7
	v_fmac_f32_e32 v65, -0.5, v2
	v_sub_f32_e32 v2, v69, v74
	v_sub_f32_e32 v7, v5, v7
	s_delay_alu instid0(VALU_DEP_2) | instskip(NEXT) | instid1(VALU_DEP_1)
	v_fmamk_f32 v13, v2, 0x3f5db3d7, v65
	v_dual_fmac_f32 v65, 0xbf5db3d7, v2 :: v_dual_mul_f32 v62, 0xbf5db3d7, v13
	s_delay_alu instid0(VALU_DEP_1) | instskip(SKIP_1) | instid1(VALU_DEP_3)
	v_mul_f32_e32 v63, 0xbf5db3d7, v65
	v_mul_f32_e32 v66, 0.5, v13
	v_dual_mul_f32 v65, -0.5, v65 :: v_dual_fmac_f32 v62, 0.5, v3
	s_delay_alu instid0(VALU_DEP_2) | instskip(NEXT) | instid1(VALU_DEP_2)
	v_dual_fmac_f32 v63, -0.5, v64 :: v_dual_fmac_f32 v66, 0x3f5db3d7, v3
	v_dual_fmac_f32 v65, 0x3f5db3d7, v64 :: v_dual_add_f32 v12, v4, v62
	s_delay_alu instid0(VALU_DEP_2)
	v_dual_add_f32 v2, v1, v63 :: v_dual_add_f32 v13, v8, v66
	v_sub_f32_e32 v0, v4, v62
	v_dual_sub_f32 v4, v1, v63 :: v_dual_sub_f32 v1, v8, v66
	scratch_load_b32 v8, off, off offset:424 ; 4-byte Folded Reload
	s_waitcnt vmcnt(0)
	ds_store_2addr_b64 v8, v[56:57], v[58:59] offset1:60
	ds_store_2addr_b64 v8, v[54:55], v[60:61] offset0:120 offset1:180
	scratch_load_b32 v8, off, off offset:300 ; 4-byte Folded Reload
	v_add_f32_e32 v3, v9, v65
	v_sub_f32_e32 v5, v9, v65
	s_waitcnt vmcnt(0)
	ds_store_2addr_b64 v8, v[50:51], v[52:53] offset0:112 offset1:172
	scratch_load_b32 v8, off, off offset:324 ; 4-byte Folded Reload
	s_waitcnt vmcnt(0)
	ds_store_2addr_b64 v8, v[46:47], v[48:49] offset1:60
	ds_store_2addr_b64 v8, v[40:41], v[44:45] offset0:120 offset1:180
	scratch_load_b32 v8, off, off offset:308 ; 4-byte Folded Reload
	s_waitcnt vmcnt(0)
	ds_store_2addr_b64 v8, v[38:39], v[42:43] offset0:112 offset1:172
	scratch_load_b32 v8, off, off offset:408 ; 4-byte Folded Reload
	s_waitcnt vmcnt(0)
	ds_store_2addr_b64 v8, v[34:35], v[36:37] offset1:60
	ds_store_2addr_b64 v8, v[28:29], v[32:33] offset0:120 offset1:180
	scratch_load_b32 v8, off, off offset:388 ; 4-byte Folded Reload
	;; [unrolled: 7-line block ×4, first 2 shown]
	s_waitcnt vmcnt(0)
	ds_store_2addr_b64 v2, v[0:1], v[4:5] offset0:112 offset1:172
	s_waitcnt lgkmcnt(0)
	s_barrier
	buffer_gl0_inv
	ds_load_2addr_b64 v[0:3], v160 offset1:96
	ds_load_2addr_b64 v[4:7], v158 offset0:64 offset1:160
	ds_load_2addr_b64 v[8:11], v157 offset1:96
	ds_load_2addr_b64 v[12:15], v150 offset0:64 offset1:160
	ds_load_2addr_b64 v[16:19], v154 offset0:64 offset1:160
	;; [unrolled: 1-line block ×6, first 2 shown]
	ds_load_2addr_b64 v[36:39], v199 offset1:96
	ds_load_2addr_b64 v[40:43], v215 offset1:96
	ds_load_2addr_b64 v[44:47], v167 offset0:64 offset1:160
	ds_load_2addr_b64 v[48:51], v152 offset0:64 offset1:160
	;; [unrolled: 1-line block ×4, first 2 shown]
	scratch_load_b64 v[62:63], off, off offset:412 ; 8-byte Folded Reload
	s_waitcnt lgkmcnt(13)
	v_mul_f32_e32 v60, v247, v7
	s_delay_alu instid0(VALU_DEP_1)
	v_fmac_f32_e32 v60, v246, v6
	v_mul_f32_e32 v6, v247, v6
	s_waitcnt lgkmcnt(8)
	v_dual_mul_f32 v65, v251, v25 :: v_dual_mul_f32 v66, v249, v27
	s_waitcnt lgkmcnt(6)
	v_dual_mul_f32 v67, v245, v33 :: v_dual_mul_f32 v68, v239, v35
	v_fma_f32 v7, v246, v7, -v6
	s_waitcnt lgkmcnt(4)
	v_dual_mul_f32 v69, v237, v41 :: v_dual_mul_f32 v70, v235, v43
	s_waitcnt lgkmcnt(2)
	v_dual_mul_f32 v71, v233, v49 :: v_dual_mul_f32 v72, v231, v51
	;; [unrolled: 2-line block ×3, first 2 shown]
	v_sub_f32_e32 v7, v1, v7
	v_dual_fmac_f32 v65, v250, v24 :: v_dual_fmac_f32 v66, v248, v26
	v_dual_fmac_f32 v67, v244, v32 :: v_dual_fmac_f32 v68, v238, v34
	s_delay_alu instid0(VALU_DEP_3)
	v_fma_f32 v1, v1, 2.0, -v7
	v_dual_fmac_f32 v69, v236, v40 :: v_dual_fmac_f32 v70, v234, v42
	v_dual_fmac_f32 v71, v232, v48 :: v_dual_fmac_f32 v72, v230, v50
	;; [unrolled: 1-line block ×3, first 2 shown]
	s_waitcnt vmcnt(0)
	v_mul_f32_e32 v61, v63, v9
	v_mul_f32_e32 v6, v63, v8
	scratch_load_b64 v[63:64], off, off offset:504 ; 8-byte Folded Reload
	s_waitcnt vmcnt(0)
	s_barrier
	v_fmac_f32_e32 v61, v62, v8
	v_fma_f32 v9, v62, v9, -v6
	buffer_gl0_inv
	v_sub_f32_e32 v8, v2, v61
	v_sub_f32_e32 v9, v3, v9
	s_delay_alu instid0(VALU_DEP_2) | instskip(NEXT) | instid1(VALU_DEP_2)
	v_fma_f32 v2, v2, 2.0, -v8
	v_fma_f32 v3, v3, 2.0, -v9
	v_mul_f32_e32 v6, v64, v10
	v_mul_f32_e32 v62, v64, v11
	;; [unrolled: 1-line block ×3, first 2 shown]
	s_delay_alu instid0(VALU_DEP_3) | instskip(SKIP_1) | instid1(VALU_DEP_4)
	v_fma_f32 v11, v63, v11, -v6
	v_mul_f32_e32 v6, v255, v16
	v_fmac_f32_e32 v62, v63, v10
	s_delay_alu instid0(VALU_DEP_4) | instskip(NEXT) | instid1(VALU_DEP_4)
	v_dual_mul_f32 v63, v255, v17 :: v_dual_fmac_f32 v64, v252, v18
	v_sub_f32_e32 v11, v13, v11
	s_delay_alu instid0(VALU_DEP_4) | instskip(SKIP_1) | instid1(VALU_DEP_4)
	v_fma_f32 v17, v254, v17, -v6
	v_mul_f32_e32 v6, v253, v18
	v_dual_sub_f32 v10, v12, v62 :: v_dual_fmac_f32 v63, v254, v16
	s_delay_alu instid0(VALU_DEP_4) | instskip(NEXT) | instid1(VALU_DEP_4)
	v_fma_f32 v13, v13, 2.0, -v11
	v_sub_f32_e32 v17, v15, v17
	s_delay_alu instid0(VALU_DEP_4)
	v_fma_f32 v19, v252, v19, -v6
	v_mul_f32_e32 v6, v251, v24
	v_fma_f32 v12, v12, 2.0, -v10
	v_sub_f32_e32 v16, v14, v63
	v_fma_f32 v15, v15, 2.0, -v17
	v_sub_f32_e32 v18, v20, v64
	v_fma_f32 v25, v250, v25, -v6
	v_mul_f32_e32 v6, v249, v26
	v_fma_f32 v14, v14, 2.0, -v16
	v_dual_sub_f32 v19, v21, v19 :: v_dual_sub_f32 v24, v22, v65
	s_delay_alu instid0(VALU_DEP_4) | instskip(NEXT) | instid1(VALU_DEP_4)
	v_sub_f32_e32 v25, v23, v25
	v_fma_f32 v27, v248, v27, -v6
	v_mul_f32_e32 v6, v245, v32
	v_sub_f32_e32 v26, v28, v66
	v_fma_f32 v20, v20, 2.0, -v18
	v_fma_f32 v21, v21, 2.0, -v19
	v_sub_f32_e32 v27, v29, v27
	v_fma_f32 v33, v244, v33, -v6
	v_mul_f32_e32 v6, v239, v34
	v_fma_f32 v22, v22, 2.0, -v24
	v_fma_f32 v23, v23, 2.0, -v25
	;; [unrolled: 1-line block ×4, first 2 shown]
	v_fma_f32 v35, v238, v35, -v6
	v_mul_f32_e32 v6, v237, v40
	v_dual_sub_f32 v32, v30, v67 :: v_dual_sub_f32 v33, v31, v33
	s_delay_alu instid0(VALU_DEP_3) | instskip(NEXT) | instid1(VALU_DEP_3)
	v_dual_sub_f32 v34, v36, v68 :: v_dual_sub_f32 v35, v37, v35
	v_fma_f32 v41, v236, v41, -v6
	v_mul_f32_e32 v6, v235, v42
	s_delay_alu instid0(VALU_DEP_4)
	v_fma_f32 v30, v30, 2.0, -v32
	v_fma_f32 v31, v31, 2.0, -v33
	v_fma_f32 v36, v36, 2.0, -v34
	v_fma_f32 v37, v37, 2.0, -v35
	v_fma_f32 v43, v234, v43, -v6
	v_mul_f32_e32 v6, v233, v48
	v_sub_f32_e32 v40, v38, v69
	v_dual_sub_f32 v41, v39, v41 :: v_dual_sub_f32 v42, v44, v70
	s_delay_alu instid0(VALU_DEP_4) | instskip(NEXT) | instid1(VALU_DEP_4)
	v_sub_f32_e32 v43, v45, v43
	v_fma_f32 v49, v232, v49, -v6
	v_mul_f32_e32 v6, v231, v50
	v_fma_f32 v38, v38, 2.0, -v40
	v_fma_f32 v39, v39, 2.0, -v41
	v_fma_f32 v44, v44, 2.0, -v42
	v_fma_f32 v45, v45, 2.0, -v43
	v_fma_f32 v51, v230, v51, -v6
	v_mul_f32_e32 v6, v210, v56
	v_dual_sub_f32 v48, v46, v71 :: v_dual_sub_f32 v49, v47, v49
	s_delay_alu instid0(VALU_DEP_3) | instskip(NEXT) | instid1(VALU_DEP_3)
	v_dual_sub_f32 v50, v52, v72 :: v_dual_sub_f32 v51, v53, v51
	v_fma_f32 v57, v209, v57, -v6
	v_mul_f32_e32 v6, v204, v58
	s_delay_alu instid0(VALU_DEP_4)
	v_fma_f32 v46, v46, 2.0, -v48
	v_fma_f32 v47, v47, 2.0, -v49
	;; [unrolled: 1-line block ×4, first 2 shown]
	v_fma_f32 v59, v203, v59, -v6
	v_sub_f32_e32 v6, v0, v60
	v_sub_f32_e32 v56, v54, v73
	v_dual_sub_f32 v57, v55, v57 :: v_dual_sub_f32 v58, v4, v74
	s_delay_alu instid0(VALU_DEP_4) | instskip(NEXT) | instid1(VALU_DEP_4)
	v_sub_f32_e32 v59, v5, v59
	v_fma_f32 v0, v0, 2.0, -v6
	ds_store_b64 v160, v[6:7] offset:2880
	ds_store_2addr_b64 v160, v[0:1], v[2:3] offset1:96
	ds_store_b64 v160, v[12:13] offset:1536
	v_add_nc_u32_e32 v0, 0xc00, v160
	v_fma_f32 v54, v54, 2.0, -v56
	v_fma_f32 v55, v55, 2.0, -v57
	;; [unrolled: 1-line block ×4, first 2 shown]
	ds_store_2addr_b64 v0, v[8:9], v[10:11] offset0:72 offset1:168
	scratch_load_b32 v0, off, off offset:496 ; 4-byte Folded Reload
	s_waitcnt vmcnt(0)
	ds_store_b64 v0, v[14:15]
	ds_store_b64 v0, v[16:17] offset:2880
	v_add_nc_u32_e32 v0, 0x1400, v160
	ds_store_2addr_b64 v0, v[20:21], v[22:23] offset0:104 offset1:200
	ds_store_2addr_b64 v167, v[28:29], v[18:19] offset0:40 offset1:208
	scratch_load_b32 v0, off, off offset:472 ; 4-byte Folded Reload
	ds_store_2addr_b64 v76, v[24:25], v[26:27] offset0:48 offset1:144
	s_waitcnt vmcnt(0)
	ds_store_b64 v0, v[30:31]
	ds_store_b64 v0, v[32:33] offset:2880
	scratch_load_b32 v0, off, off offset:460 ; 4-byte Folded Reload
	s_waitcnt vmcnt(0)
	ds_store_b64 v0, v[36:37] offset:11520
	ds_store_b64 v0, v[34:35] offset:14400
	scratch_load_b32 v0, off, off offset:464 ; 4-byte Folded Reload
	s_waitcnt vmcnt(0)
	ds_store_b64 v0, v[38:39] offset:11520
	;; [unrolled: 4-line block ×3, first 2 shown]
	ds_store_b64 v0, v[42:43] offset:14400
	scratch_load_b32 v0, off, off offset:488 ; 4-byte Folded Reload
	s_waitcnt vmcnt(0)
	ds_store_b64 v0, v[46:47]
	ds_store_b64 v0, v[48:49] offset:2880
	scratch_load_b32 v0, off, off offset:476 ; 4-byte Folded Reload
	s_waitcnt vmcnt(0)
	ds_store_b64 v0, v[52:53] offset:17280
	ds_store_b64 v0, v[50:51] offset:20160
	scratch_load_b32 v0, off, off offset:480 ; 4-byte Folded Reload
	s_waitcnt vmcnt(0)
	ds_store_b64 v0, v[54:55] offset:17280
	;; [unrolled: 4-line block ×3, first 2 shown]
	ds_store_b64 v0, v[58:59] offset:20160
	s_waitcnt lgkmcnt(0)
	s_barrier
	buffer_gl0_inv
	ds_load_2addr_b64 v[0:3], v160 offset1:96
	ds_load_2addr_b64 v[4:7], v158 offset0:64 offset1:160
	ds_load_2addr_b64 v[8:11], v157 offset1:96
	ds_load_2addr_b64 v[12:15], v150 offset0:64 offset1:160
	ds_load_2addr_b64 v[16:19], v154 offset0:64 offset1:160
	;; [unrolled: 1-line block ×6, first 2 shown]
	ds_load_2addr_b64 v[36:39], v199 offset1:96
	ds_load_2addr_b64 v[40:43], v215 offset1:96
	ds_load_2addr_b64 v[44:47], v167 offset0:64 offset1:160
	ds_load_2addr_b64 v[48:51], v152 offset0:64 offset1:160
	;; [unrolled: 1-line block ×4, first 2 shown]
	s_waitcnt lgkmcnt(0)
	s_barrier
	buffer_gl0_inv
	v_mul_f32_e32 v60, v229, v7
	v_dual_mul_f32 v61, v217, v9 :: v_dual_mul_f32 v62, v243, v11
	v_mul_f32_e32 v63, v223, v17
	v_mul_f32_e32 v64, v219, v19
	s_delay_alu instid0(VALU_DEP_4) | instskip(SKIP_4) | instid1(VALU_DEP_4)
	v_fmac_f32_e32 v60, v228, v6
	v_mul_f32_e32 v6, v229, v6
	v_dual_mul_f32 v65, v225, v25 :: v_dual_mul_f32 v66, v227, v27
	v_mul_f32_e32 v67, v241, v33
	v_mul_f32_e32 v68, v221, v35
	v_fma_f32 v7, v228, v7, -v6
	v_dual_mul_f32 v6, v217, v8 :: v_dual_mul_f32 v69, v202, v41
	v_mul_f32_e32 v70, v208, v43
	v_dual_mul_f32 v71, v212, v49 :: v_dual_mul_f32 v72, v198, v51
	s_delay_alu instid0(VALU_DEP_3) | instskip(SKIP_3) | instid1(VALU_DEP_3)
	v_fma_f32 v9, v216, v9, -v6
	v_dual_mul_f32 v6, v243, v10 :: v_dual_fmac_f32 v61, v216, v8
	v_dual_mul_f32 v73, v191, v57 :: v_dual_fmac_f32 v62, v242, v10
	v_fmac_f32_e32 v63, v222, v16
	v_fma_f32 v11, v242, v11, -v6
	v_mul_f32_e32 v6, v223, v16
	v_dual_fmac_f32 v64, v218, v18 :: v_dual_fmac_f32 v65, v224, v24
	v_fmac_f32_e32 v66, v226, v26
	v_mul_f32_e32 v74, v189, v59
	s_delay_alu instid0(VALU_DEP_4) | instskip(SKIP_3) | instid1(VALU_DEP_3)
	v_fma_f32 v17, v222, v17, -v6
	v_dual_mul_f32 v6, v219, v18 :: v_dual_sub_f32 v7, v1, v7
	v_sub_f32_e32 v8, v2, v61
	v_dual_sub_f32 v9, v3, v9 :: v_dual_sub_f32 v10, v12, v62
	v_fma_f32 v19, v218, v19, -v6
	v_mul_f32_e32 v6, v225, v24
	v_sub_f32_e32 v11, v13, v11
	v_dual_sub_f32 v16, v14, v63 :: v_dual_sub_f32 v17, v15, v17
	v_sub_f32_e32 v18, v20, v64
	s_delay_alu instid0(VALU_DEP_4) | instskip(SKIP_2) | instid1(VALU_DEP_3)
	v_fma_f32 v25, v224, v25, -v6
	v_dual_mul_f32 v6, v227, v26 :: v_dual_sub_f32 v19, v21, v19
	v_sub_f32_e32 v24, v22, v65
	v_dual_sub_f32 v26, v28, v66 :: v_dual_sub_f32 v25, v23, v25
	s_delay_alu instid0(VALU_DEP_3)
	v_fma_f32 v27, v226, v27, -v6
	v_mul_f32_e32 v6, v241, v32
	v_fma_f32 v1, v1, 2.0, -v7
	v_fma_f32 v2, v2, 2.0, -v8
	;; [unrolled: 1-line block ×3, first 2 shown]
	v_sub_f32_e32 v27, v29, v27
	v_fma_f32 v33, v240, v33, -v6
	v_mul_f32_e32 v6, v221, v34
	v_fma_f32 v12, v12, 2.0, -v10
	v_fma_f32 v13, v13, 2.0, -v11
	;; [unrolled: 1-line block ×4, first 2 shown]
	v_fma_f32 v35, v220, v35, -v6
	v_mul_f32_e32 v6, v202, v40
	v_fma_f32 v20, v20, 2.0, -v18
	v_fma_f32 v21, v21, 2.0, -v19
	;; [unrolled: 1-line block ×4, first 2 shown]
	v_fma_f32 v41, v201, v41, -v6
	v_mul_f32_e32 v6, v208, v42
	v_fma_f32 v28, v28, 2.0, -v26
	v_fma_f32 v29, v29, 2.0, -v27
	v_fmac_f32_e32 v67, v240, v32
	v_fmac_f32_e32 v68, v220, v34
	v_fma_f32 v43, v207, v43, -v6
	v_mul_f32_e32 v6, v212, v48
	s_delay_alu instid0(VALU_DEP_4) | instskip(SKIP_2) | instid1(VALU_DEP_4)
	v_dual_fmac_f32 v69, v201, v40 :: v_dual_sub_f32 v32, v30, v67
	v_sub_f32_e32 v33, v31, v33
	v_fmac_f32_e32 v70, v207, v42
	v_fma_f32 v49, v211, v49, -v6
	v_dual_mul_f32 v6, v198, v50 :: v_dual_fmac_f32 v71, v211, v48
	v_dual_fmac_f32 v72, v197, v50 :: v_dual_fmac_f32 v73, v190, v56
	v_fmac_f32_e32 v74, v188, v58
	s_delay_alu instid0(VALU_DEP_3) | instskip(SKIP_4) | instid1(VALU_DEP_4)
	v_fma_f32 v51, v197, v51, -v6
	v_mul_f32_e32 v6, v191, v56
	v_fma_f32 v30, v30, 2.0, -v32
	v_fma_f32 v31, v31, 2.0, -v33
	v_dual_sub_f32 v34, v36, v68 :: v_dual_sub_f32 v35, v37, v35
	v_fma_f32 v57, v190, v57, -v6
	v_mul_f32_e32 v6, v189, v58
	v_sub_f32_e32 v40, v38, v69
	v_dual_sub_f32 v41, v39, v41 :: v_dual_sub_f32 v42, v44, v70
	v_sub_f32_e32 v43, v45, v43
	s_delay_alu instid0(VALU_DEP_4) | instskip(SKIP_3) | instid1(VALU_DEP_3)
	v_fma_f32 v59, v188, v59, -v6
	v_sub_f32_e32 v6, v0, v60
	v_dual_sub_f32 v48, v46, v71 :: v_dual_sub_f32 v49, v47, v49
	v_dual_sub_f32 v50, v52, v72 :: v_dual_sub_f32 v51, v53, v51
	v_fma_f32 v0, v0, 2.0, -v6
	ds_store_b64 v160, v[6:7] offset:5760
	ds_store_2addr_b64 v160, v[0:1], v[2:3] offset1:96
	ds_store_2addr_b64 v199, v[8:9], v[10:11] offset0:48 offset1:144
	ds_store_2addr_b64 v150, v[12:13], v[14:15] offset0:64 offset1:160
	;; [unrolled: 1-line block ×4, first 2 shown]
	ds_store_b64 v160, v[28:29] offset:4608
	ds_store_2addr_b64 v76, v[24:25], v[26:27] offset0:48 offset1:144
	scratch_load_b32 v0, off, off offset:500 ; 4-byte Folded Reload
	v_sub_f32_e32 v56, v54, v73
	v_dual_sub_f32 v57, v55, v57 :: v_dual_sub_f32 v58, v4, v74
	v_sub_f32_e32 v59, v5, v59
	v_fma_f32 v36, v36, 2.0, -v34
	v_fma_f32 v37, v37, 2.0, -v35
	;; [unrolled: 1-line block ×4, first 2 shown]
	s_waitcnt vmcnt(0)
	ds_store_b64 v0, v[30:31]
	ds_store_b64 v0, v[32:33] offset:5760
	v_add_nc_u32_e32 v0, 0x2c00, v160
	v_fma_f32 v44, v44, 2.0, -v42
	v_fma_f32 v45, v45, 2.0, -v43
	;; [unrolled: 1-line block ×10, first 2 shown]
	ds_store_2addr_b64 v0, v[36:37], v[38:39] offset0:80 offset1:176
	ds_store_2addr_b64 v215, v[40:41], v[42:43] offset1:96
	ds_store_2addr_b64 v157, v[44:45], v[46:47] offset0:144 offset1:240
	ds_store_2addr_b64 v152, v[48:49], v[50:51] offset0:64 offset1:160
	;; [unrolled: 1-line block ×5, first 2 shown]
	s_waitcnt lgkmcnt(0)
	s_barrier
	buffer_gl0_inv
	ds_load_2addr_b64 v[0:3], v160 offset1:96
	ds_load_2addr_b64 v[4:7], v158 offset0:64 offset1:160
	ds_load_2addr_b64 v[8:11], v157 offset1:96
	ds_load_2addr_b64 v[12:15], v150 offset0:64 offset1:160
	ds_load_2addr_b64 v[16:19], v154 offset0:64 offset1:160
	ds_load_2addr_b64 v[20:23], v155 offset0:128 offset1:224
	ds_load_2addr_b64 v[24:27], v192 offset0:128 offset1:224
	ds_load_2addr_b64 v[28:31], v151 offset0:64 offset1:160
	ds_load_2addr_b64 v[32:35], v156 offset0:64 offset1:160
	ds_load_2addr_b64 v[36:39], v199 offset1:96
	ds_load_2addr_b64 v[40:43], v215 offset1:96
	ds_load_2addr_b64 v[44:47], v167 offset0:64 offset1:160
	ds_load_2addr_b64 v[48:51], v152 offset0:64 offset1:160
	;; [unrolled: 1-line block ×4, first 2 shown]
	s_waitcnt lgkmcnt(13)
	v_mul_f32_e32 v60, v214, v7
	s_waitcnt lgkmcnt(12)
	v_dual_mul_f32 v61, v206, v9 :: v_dual_mul_f32 v62, v187, v11
	s_waitcnt lgkmcnt(10)
	v_mul_f32_e32 v63, v185, v17
	v_mul_f32_e32 v64, v181, v19
	v_fmac_f32_e32 v60, v213, v6
	s_waitcnt lgkmcnt(8)
	v_dual_mul_f32 v6, v214, v6 :: v_dual_mul_f32 v65, v183, v25
	s_waitcnt lgkmcnt(6)
	v_dual_mul_f32 v66, v179, v27 :: v_dual_mul_f32 v67, v177, v33
	v_mul_f32_e32 v68, v173, v35
	s_delay_alu instid0(VALU_DEP_3)
	v_fma_f32 v7, v213, v7, -v6
	s_waitcnt lgkmcnt(4)
	v_dual_mul_f32 v6, v206, v8 :: v_dual_mul_f32 v69, v169, v41
	v_mul_f32_e32 v70, v171, v43
	s_waitcnt lgkmcnt(2)
	v_dual_mul_f32 v71, v175, v49 :: v_dual_mul_f32 v72, v166, v51
	s_delay_alu instid0(VALU_DEP_3) | instskip(SKIP_4) | instid1(VALU_DEP_3)
	v_fma_f32 v9, v205, v9, -v6
	s_waitcnt lgkmcnt(0)
	v_dual_mul_f32 v6, v187, v10 :: v_dual_mul_f32 v73, v164, v57
	v_dual_mul_f32 v74, v162, v59 :: v_dual_fmac_f32 v61, v205, v8
	v_fmac_f32_e32 v62, v186, v10
	v_fma_f32 v11, v186, v11, -v6
	v_mul_f32_e32 v6, v185, v16
	v_fmac_f32_e32 v63, v184, v16
	v_dual_fmac_f32 v64, v180, v18 :: v_dual_fmac_f32 v65, v182, v24
	v_fmac_f32_e32 v66, v178, v26
	s_delay_alu instid0(VALU_DEP_4) | instskip(SKIP_3) | instid1(VALU_DEP_3)
	v_fma_f32 v17, v184, v17, -v6
	v_dual_mul_f32 v6, v181, v18 :: v_dual_fmac_f32 v67, v176, v32
	v_fmac_f32_e32 v68, v172, v34
	v_dual_fmac_f32 v69, v168, v40 :: v_dual_fmac_f32 v70, v170, v42
	v_fma_f32 v19, v180, v19, -v6
	v_mul_f32_e32 v6, v183, v24
	v_dual_fmac_f32 v71, v174, v48 :: v_dual_fmac_f32 v72, v165, v50
	v_dual_fmac_f32 v73, v163, v56 :: v_dual_fmac_f32 v74, v161, v58
	s_delay_alu instid0(VALU_DEP_3) | instskip(SKIP_3) | instid1(VALU_DEP_3)
	v_fma_f32 v25, v182, v25, -v6
	v_dual_mul_f32 v6, v179, v26 :: v_dual_sub_f32 v7, v1, v7
	v_sub_f32_e32 v8, v2, v61
	v_dual_sub_f32 v9, v3, v9 :: v_dual_sub_f32 v10, v12, v62
	v_fma_f32 v27, v178, v27, -v6
	v_mul_f32_e32 v6, v177, v32
	v_sub_f32_e32 v11, v13, v11
	v_dual_sub_f32 v16, v14, v63 :: v_dual_sub_f32 v17, v15, v17
	v_sub_f32_e32 v18, v20, v64
	s_delay_alu instid0(VALU_DEP_4) | instskip(SKIP_3) | instid1(VALU_DEP_3)
	v_fma_f32 v33, v176, v33, -v6
	v_mul_f32_e32 v6, v173, v34
	v_dual_sub_f32 v19, v21, v19 :: v_dual_sub_f32 v24, v22, v65
	v_dual_sub_f32 v25, v23, v25 :: v_dual_sub_f32 v26, v28, v66
	v_fma_f32 v35, v172, v35, -v6
	v_mul_f32_e32 v6, v169, v40
	v_sub_f32_e32 v27, v29, v27
	v_dual_sub_f32 v32, v30, v67 :: v_dual_sub_f32 v33, v31, v33
	v_sub_f32_e32 v34, v36, v68
	s_delay_alu instid0(VALU_DEP_4) | instskip(SKIP_2) | instid1(VALU_DEP_3)
	v_fma_f32 v41, v168, v41, -v6
	v_dual_mul_f32 v6, v171, v42 :: v_dual_sub_f32 v35, v37, v35
	v_sub_f32_e32 v40, v38, v69
	v_dual_sub_f32 v42, v44, v70 :: v_dual_sub_f32 v41, v39, v41
	s_delay_alu instid0(VALU_DEP_3)
	v_fma_f32 v43, v170, v43, -v6
	v_mul_f32_e32 v6, v175, v48
	v_sub_f32_e32 v48, v46, v71
	v_fma_f32 v1, v1, 2.0, -v7
	v_fma_f32 v2, v2, 2.0, -v8
	v_sub_f32_e32 v43, v45, v43
	v_fma_f32 v49, v174, v49, -v6
	v_mul_f32_e32 v6, v166, v50
	v_sub_f32_e32 v50, v52, v72
	v_fma_f32 v3, v3, 2.0, -v9
	v_fma_f32 v12, v12, 2.0, -v10
	v_sub_f32_e32 v49, v47, v49
	v_fma_f32 v51, v165, v51, -v6
	v_mul_f32_e32 v6, v164, v56
	v_sub_f32_e32 v56, v54, v73
	v_fma_f32 v13, v13, 2.0, -v11
	v_fma_f32 v14, v14, 2.0, -v16
	v_sub_f32_e32 v51, v53, v51
	v_fma_f32 v57, v163, v57, -v6
	v_mul_f32_e32 v6, v162, v58
	v_sub_f32_e32 v58, v4, v74
	v_fma_f32 v15, v15, 2.0, -v17
	v_fma_f32 v20, v20, 2.0, -v18
	v_sub_f32_e32 v57, v55, v57
	v_fma_f32 v59, v161, v59, -v6
	v_sub_f32_e32 v6, v0, v60
	v_fma_f32 v21, v21, 2.0, -v19
	v_fma_f32 v22, v22, 2.0, -v24
	;; [unrolled: 1-line block ×3, first 2 shown]
	v_sub_f32_e32 v59, v5, v59
	v_fma_f32 v0, v0, 2.0, -v6
	v_fma_f32 v28, v28, 2.0, -v26
	;; [unrolled: 1-line block ×19, first 2 shown]
	ds_store_b64 v160, v[6:7] offset:11520
	ds_store_2addr_b64 v160, v[0:1], v[2:3] offset1:96
	ds_store_2addr_b64 v157, v[8:9], v[10:11] offset1:96
	ds_store_2addr_b64 v150, v[12:13], v[14:15] offset0:64 offset1:160
	ds_store_2addr_b64 v154, v[16:17], v[18:19] offset0:64 offset1:160
	;; [unrolled: 1-line block ×6, first 2 shown]
	ds_store_2addr_b64 v199, v[36:37], v[38:39] offset1:96
	ds_store_2addr_b64 v215, v[40:41], v[42:43] offset1:96
	ds_store_2addr_b64 v167, v[44:45], v[46:47] offset0:64 offset1:160
	ds_store_2addr_b64 v152, v[48:49], v[50:51] offset0:64 offset1:160
	;; [unrolled: 1-line block ×3, first 2 shown]
	ds_store_b64 v160, v[4:5] offset:10752
	ds_store_2addr_b64 v153, v[56:57], v[58:59] offset0:128 offset1:224
	s_waitcnt lgkmcnt(0)
	s_barrier
	buffer_gl0_inv
	s_clause 0x1
	scratch_load_b64 v[1:2], off, off offset:204
	scratch_load_b32 v6, off, off offset:288
	ds_load_2addr_b64 v[26:29], v160 offset1:96
	scratch_load_b32 v8, off, off offset:272 ; 4-byte Folded Reload
	ds_load_2addr_b64 v[16:19], v150 offset0:64 offset1:160
	ds_load_2addr_b64 v[12:15], v199 offset1:96
	s_waitcnt vmcnt(2) lgkmcnt(2)
	v_mul_f32_e32 v0, v2, v27
	v_mov_b32_e32 v3, v2
	v_mov_b32_e32 v2, v1
	s_delay_alu instid0(VALU_DEP_3) | instskip(NEXT) | instid1(VALU_DEP_1)
	v_fmac_f32_e32 v0, v1, v26
	v_cvt_f64_f32_e32 v[0:1], v0
	s_delay_alu instid0(VALU_DEP_1) | instskip(NEXT) | instid1(VALU_DEP_1)
	v_mul_f64 v[0:1], v[0:1], s[2:3]
	v_cvt_f32_f64_e32 v0, v[0:1]
	v_mul_f32_e32 v1, v3, v26
	s_delay_alu instid0(VALU_DEP_1) | instskip(SKIP_2) | instid1(VALU_DEP_1)
	v_fma_f32 v1, v2, v27, -v1
	ds_load_2addr_b64 v[24:27], v151 offset0:64 offset1:160
	v_cvt_f64_f32_e32 v[1:2], v1
	v_mul_f64 v[1:2], v[1:2], s[2:3]
	s_delay_alu instid0(VALU_DEP_1) | instskip(SKIP_2) | instid1(VALU_DEP_1)
	v_cvt_f32_f64_e32 v1, v[1:2]
	s_waitcnt vmcnt(1)
	v_mad_u64_u32 v[2:3], null, s0, v6, 0
	v_mad_u64_u32 v[4:5], null, s1, v6, v[3:4]
	s_delay_alu instid0(VALU_DEP_1) | instskip(SKIP_4) | instid1(VALU_DEP_1)
	v_mov_b32_e32 v3, v4
	scratch_load_b64 v[4:5], off, off offset:172 ; 8-byte Folded Reload
	v_lshlrev_b64 v[2:3], 3, v[2:3]
	s_waitcnt vmcnt(0)
	v_lshlrev_b64 v[4:5], 3, v[4:5]
	v_add_co_u32 v32, vcc_lo, s12, v4
	s_delay_alu instid0(VALU_DEP_2)
	v_add_co_ci_u32_e32 v33, vcc_lo, s13, v5, vcc_lo
	scratch_load_b64 v[4:5], off, off offset:196 ; 8-byte Folded Reload
	v_add_co_u32 v2, vcc_lo, v32, v2
	v_add_co_ci_u32_e32 v3, vcc_lo, v33, v3, vcc_lo
	global_store_b64 v[2:3], v[0:1], off
	v_add_co_u32 v2, vcc_lo, v2, s5
	v_add_co_ci_u32_e32 v3, vcc_lo, s4, v3, vcc_lo
	s_waitcnt vmcnt(0) lgkmcnt(2)
	v_mul_f32_e32 v0, v5, v19
	s_delay_alu instid0(VALU_DEP_1) | instskip(NEXT) | instid1(VALU_DEP_1)
	v_fmac_f32_e32 v0, v4, v18
	v_cvt_f64_f32_e32 v[0:1], v0
	s_delay_alu instid0(VALU_DEP_1) | instskip(NEXT) | instid1(VALU_DEP_1)
	v_mul_f64 v[0:1], v[0:1], s[2:3]
	v_cvt_f32_f64_e32 v0, v[0:1]
	v_mul_f32_e32 v1, v5, v18
	s_delay_alu instid0(VALU_DEP_1) | instskip(NEXT) | instid1(VALU_DEP_1)
	v_fma_f32 v1, v4, v19, -v1
	v_cvt_f64_f32_e32 v[4:5], v1
	s_delay_alu instid0(VALU_DEP_1) | instskip(NEXT) | instid1(VALU_DEP_1)
	v_mul_f64 v[4:5], v[4:5], s[2:3]
	v_cvt_f32_f64_e32 v1, v[4:5]
	scratch_load_b64 v[4:5], off, off offset:188 ; 8-byte Folded Reload
	global_store_b64 v[2:3], v[0:1], off
	v_add_co_u32 v2, vcc_lo, v2, s5
	v_add_co_ci_u32_e32 v3, vcc_lo, s4, v3, vcc_lo
	s_waitcnt vmcnt(0) lgkmcnt(0)
	v_mul_f32_e32 v0, v5, v25
	s_delay_alu instid0(VALU_DEP_1) | instskip(NEXT) | instid1(VALU_DEP_1)
	v_fmac_f32_e32 v0, v4, v24
	v_cvt_f64_f32_e32 v[0:1], v0
	s_delay_alu instid0(VALU_DEP_1) | instskip(NEXT) | instid1(VALU_DEP_1)
	v_mul_f64 v[0:1], v[0:1], s[2:3]
	v_cvt_f32_f64_e32 v0, v[0:1]
	v_mul_f32_e32 v1, v5, v24
	s_delay_alu instid0(VALU_DEP_1) | instskip(SKIP_2) | instid1(VALU_DEP_1)
	v_fma_f32 v1, v4, v25, -v1
	ds_load_2addr_b64 v[22:25], v200 offset0:128 offset1:224
	v_cvt_f64_f32_e32 v[4:5], v1
	v_mul_f64 v[4:5], v[4:5], s[2:3]
	s_delay_alu instid0(VALU_DEP_1)
	v_cvt_f32_f64_e32 v1, v[4:5]
	scratch_load_b64 v[4:5], off, off offset:180 ; 8-byte Folded Reload
	global_store_b64 v[2:3], v[0:1], off
	v_add_co_u32 v2, vcc_lo, v2, s5
	v_add_co_ci_u32_e32 v3, vcc_lo, s4, v3, vcc_lo
	s_waitcnt vmcnt(0)
	v_mul_f32_e32 v0, v5, v15
	s_delay_alu instid0(VALU_DEP_1) | instskip(NEXT) | instid1(VALU_DEP_1)
	v_fmac_f32_e32 v0, v4, v14
	v_cvt_f64_f32_e32 v[0:1], v0
	s_delay_alu instid0(VALU_DEP_1) | instskip(NEXT) | instid1(VALU_DEP_1)
	v_mul_f64 v[0:1], v[0:1], s[2:3]
	v_cvt_f32_f64_e32 v0, v[0:1]
	v_mul_f32_e32 v1, v5, v14
	scratch_load_b32 v14, off, off offset:244 ; 4-byte Folded Reload
	v_fma_f32 v1, v4, v15, -v1
	s_delay_alu instid0(VALU_DEP_1) | instskip(NEXT) | instid1(VALU_DEP_1)
	v_cvt_f64_f32_e32 v[4:5], v1
	v_mul_f64 v[4:5], v[4:5], s[2:3]
	s_delay_alu instid0(VALU_DEP_1) | instskip(SKIP_4) | instid1(VALU_DEP_1)
	v_cvt_f32_f64_e32 v1, v[4:5]
	scratch_load_b64 v[4:5], off, off offset:236 ; 8-byte Folded Reload
	global_store_b64 v[2:3], v[0:1], off
	s_waitcnt vmcnt(0) lgkmcnt(0)
	v_mul_f32_e32 v0, v5, v23
	v_fmac_f32_e32 v0, v4, v22
	s_delay_alu instid0(VALU_DEP_1) | instskip(NEXT) | instid1(VALU_DEP_1)
	v_cvt_f64_f32_e32 v[0:1], v0
	v_mul_f64 v[0:1], v[0:1], s[2:3]
	s_delay_alu instid0(VALU_DEP_1) | instskip(SKIP_1) | instid1(VALU_DEP_1)
	v_cvt_f32_f64_e32 v0, v[0:1]
	v_mul_f32_e32 v1, v5, v22
	v_fma_f32 v1, v4, v23, -v1
	ds_load_2addr_b64 v[20:23], v154 offset0:64 offset1:160
	v_cvt_f64_f32_e32 v[4:5], v1
	s_delay_alu instid0(VALU_DEP_1) | instskip(NEXT) | instid1(VALU_DEP_1)
	v_mul_f64 v[4:5], v[4:5], s[2:3]
	v_cvt_f32_f64_e32 v1, v[4:5]
	v_mad_u64_u32 v[4:5], null, s0, v8, 0
	s_delay_alu instid0(VALU_DEP_1) | instskip(SKIP_2) | instid1(VALU_DEP_1)
	v_mad_u64_u32 v[6:7], null, s1, v8, v[5:6]
	ds_load_2addr_b64 v[8:11], v158 offset0:64 offset1:160
	v_mov_b32_e32 v5, v6
	v_lshlrev_b64 v[4:5], 3, v[4:5]
	s_delay_alu instid0(VALU_DEP_1) | instskip(NEXT) | instid1(VALU_DEP_2)
	v_add_co_u32 v4, vcc_lo, v32, v4
	v_add_co_ci_u32_e32 v5, vcc_lo, v33, v5, vcc_lo
	v_add_co_u32 v2, vcc_lo, v2, s7
	v_add_co_ci_u32_e32 v3, vcc_lo, s6, v3, vcc_lo
	global_store_b64 v[4:5], v[0:1], off
	scratch_load_b64 v[4:5], off, off offset:228 ; 8-byte Folded Reload
	s_waitcnt vmcnt(0) lgkmcnt(0)
	v_mul_f32_e32 v0, v5, v11
	s_delay_alu instid0(VALU_DEP_1) | instskip(NEXT) | instid1(VALU_DEP_1)
	v_fmac_f32_e32 v0, v4, v10
	v_cvt_f64_f32_e32 v[0:1], v0
	s_delay_alu instid0(VALU_DEP_1) | instskip(NEXT) | instid1(VALU_DEP_1)
	v_mul_f64 v[0:1], v[0:1], s[2:3]
	v_cvt_f32_f64_e32 v0, v[0:1]
	v_mul_f32_e32 v1, v5, v10
	s_delay_alu instid0(VALU_DEP_1) | instskip(SKIP_2) | instid1(VALU_DEP_1)
	v_fma_f32 v1, v4, v11, -v1
	scratch_load_b64 v[10:11], off, off offset:212 ; 8-byte Folded Reload
	v_cvt_f64_f32_e32 v[4:5], v1
	v_mul_f64 v[4:5], v[4:5], s[2:3]
	s_delay_alu instid0(VALU_DEP_1)
	v_cvt_f32_f64_e32 v1, v[4:5]
	scratch_load_b64 v[4:5], off, off offset:220 ; 8-byte Folded Reload
	global_store_b64 v[2:3], v[0:1], off
	v_add_co_u32 v2, vcc_lo, v2, s5
	v_add_co_ci_u32_e32 v3, vcc_lo, s4, v3, vcc_lo
	s_waitcnt vmcnt(0)
	v_mul_f32_e32 v0, v5, v21
	s_delay_alu instid0(VALU_DEP_1) | instskip(NEXT) | instid1(VALU_DEP_1)
	v_fmac_f32_e32 v0, v4, v20
	v_cvt_f64_f32_e32 v[0:1], v0
	s_delay_alu instid0(VALU_DEP_1) | instskip(NEXT) | instid1(VALU_DEP_1)
	v_mul_f64 v[0:1], v[0:1], s[2:3]
	v_cvt_f32_f64_e32 v0, v[0:1]
	v_mul_f32_e32 v1, v5, v20
	s_delay_alu instid0(VALU_DEP_1) | instskip(SKIP_2) | instid1(VALU_DEP_1)
	v_fma_f32 v1, v4, v21, -v1
	ds_load_2addr_b64 v[18:21], v215 offset1:96
	v_cvt_f64_f32_e32 v[4:5], v1
	v_mul_f64 v[4:5], v[4:5], s[2:3]
	s_delay_alu instid0(VALU_DEP_1) | instskip(SKIP_4) | instid1(VALU_DEP_1)
	v_cvt_f32_f64_e32 v1, v[4:5]
	ds_load_2addr_b64 v[4:7], v192 offset0:128 offset1:224
	global_store_b64 v[2:3], v[0:1], off
	s_waitcnt lgkmcnt(0)
	v_mul_f32_e32 v0, v11, v7
	v_fmac_f32_e32 v0, v10, v6
	s_delay_alu instid0(VALU_DEP_1) | instskip(NEXT) | instid1(VALU_DEP_1)
	v_cvt_f64_f32_e32 v[0:1], v0
	v_mul_f64 v[0:1], v[0:1], s[2:3]
	s_delay_alu instid0(VALU_DEP_1) | instskip(SKIP_1) | instid1(VALU_DEP_1)
	v_cvt_f32_f64_e32 v0, v[0:1]
	v_mul_f32_e32 v1, v11, v6
	v_fma_f32 v1, v10, v7, -v1
	s_delay_alu instid0(VALU_DEP_1) | instskip(NEXT) | instid1(VALU_DEP_1)
	v_cvt_f64_f32_e32 v[6:7], v1
	v_mul_f64 v[6:7], v[6:7], s[2:3]
	s_delay_alu instid0(VALU_DEP_1)
	v_cvt_f32_f64_e32 v1, v[6:7]
	v_add_co_u32 v6, vcc_lo, v2, s5
	v_add_co_ci_u32_e32 v7, vcc_lo, s4, v3, vcc_lo
	scratch_load_b64 v[2:3], off, off offset:248 ; 8-byte Folded Reload
	global_store_b64 v[6:7], v[0:1], off
	s_waitcnt vmcnt(0)
	v_mul_f32_e32 v0, v3, v19
	s_delay_alu instid0(VALU_DEP_1) | instskip(NEXT) | instid1(VALU_DEP_1)
	v_fmac_f32_e32 v0, v2, v18
	v_cvt_f64_f32_e32 v[0:1], v0
	s_delay_alu instid0(VALU_DEP_1) | instskip(NEXT) | instid1(VALU_DEP_1)
	v_mul_f64 v[0:1], v[0:1], s[2:3]
	v_cvt_f32_f64_e32 v0, v[0:1]
	v_mul_f32_e32 v1, v3, v18
	scratch_load_b32 v18, off, off offset:264 ; 4-byte Folded Reload
	v_fma_f32 v1, v2, v19, -v1
	s_delay_alu instid0(VALU_DEP_1) | instskip(NEXT) | instid1(VALU_DEP_1)
	v_cvt_f64_f32_e32 v[1:2], v1
	v_mul_f64 v[1:2], v[1:2], s[2:3]
	s_delay_alu instid0(VALU_DEP_1) | instskip(SKIP_1) | instid1(VALU_DEP_1)
	v_cvt_f32_f64_e32 v1, v[1:2]
	v_mad_u64_u32 v[2:3], null, s0, v14, 0
	v_mad_u64_u32 v[10:11], null, s1, v14, v[3:4]
	scratch_load_b64 v[14:15], off, off offset:256 ; 8-byte Folded Reload
	v_mov_b32_e32 v3, v10
	s_delay_alu instid0(VALU_DEP_1) | instskip(NEXT) | instid1(VALU_DEP_1)
	v_lshlrev_b64 v[2:3], 3, v[2:3]
	v_add_co_u32 v2, vcc_lo, v32, v2
	s_delay_alu instid0(VALU_DEP_2) | instskip(SKIP_4) | instid1(VALU_DEP_1)
	v_add_co_ci_u32_e32 v3, vcc_lo, v33, v3, vcc_lo
	global_store_b64 v[2:3], v[0:1], off
	ds_load_2addr_b64 v[0:3], v152 offset0:64 offset1:160
	s_waitcnt vmcnt(0) lgkmcnt(0)
	v_mul_f32_e32 v10, v15, v3
	v_fmac_f32_e32 v10, v14, v2
	v_mul_f32_e32 v2, v15, v2
	s_delay_alu instid0(VALU_DEP_2) | instskip(NEXT) | instid1(VALU_DEP_2)
	v_cvt_f64_f32_e32 v[10:11], v10
	v_fma_f32 v2, v14, v3, -v2
	s_delay_alu instid0(VALU_DEP_1) | instskip(NEXT) | instid1(VALU_DEP_3)
	v_cvt_f64_f32_e32 v[2:3], v2
	v_mul_f64 v[10:11], v[10:11], s[2:3]
	s_delay_alu instid0(VALU_DEP_2) | instskip(NEXT) | instid1(VALU_DEP_2)
	v_mul_f64 v[2:3], v[2:3], s[2:3]
	v_cvt_f32_f64_e32 v10, v[10:11]
	s_delay_alu instid0(VALU_DEP_2)
	v_cvt_f32_f64_e32 v11, v[2:3]
	v_add_co_u32 v2, vcc_lo, v6, s7
	v_add_co_ci_u32_e32 v3, vcc_lo, s6, v7, vcc_lo
	global_store_b64 v[2:3], v[10:11], off
	scratch_load_b64 v[10:11], off, off offset:164 ; 8-byte Folded Reload
	s_waitcnt vmcnt(0)
	v_mul_f32_e32 v6, v11, v29
	s_delay_alu instid0(VALU_DEP_1) | instskip(NEXT) | instid1(VALU_DEP_1)
	v_fmac_f32_e32 v6, v10, v28
	v_cvt_f64_f32_e32 v[6:7], v6
	s_delay_alu instid0(VALU_DEP_1) | instskip(NEXT) | instid1(VALU_DEP_1)
	v_mul_f64 v[6:7], v[6:7], s[2:3]
	v_cvt_f32_f64_e32 v6, v[6:7]
	v_mul_f32_e32 v7, v11, v28
	s_delay_alu instid0(VALU_DEP_1) | instskip(SKIP_2) | instid1(VALU_DEP_1)
	v_fma_f32 v7, v10, v29, -v7
	ds_load_2addr_b64 v[28:31], v155 offset0:128 offset1:224
	v_cvt_f64_f32_e32 v[10:11], v7
	v_mul_f64 v[10:11], v[10:11], s[2:3]
	s_delay_alu instid0(VALU_DEP_1) | instskip(SKIP_1) | instid1(VALU_DEP_1)
	v_cvt_f32_f64_e32 v7, v[10:11]
	v_mad_u64_u32 v[10:11], null, 0xffffb200, s0, v[2:3]
	v_add_nc_u32_e32 v11, s8, v11
	s_mul_i32 s8, s1, 0xffffbb00
	s_delay_alu instid0(SALU_CYCLE_1) | instskip(SKIP_4) | instid1(VALU_DEP_1)
	s_sub_i32 s8, s8, s0
	global_store_b64 v[10:11], v[6:7], off
	scratch_load_b64 v[6:7], off, off offset:156 ; 8-byte Folded Reload
	s_waitcnt vmcnt(0) lgkmcnt(0)
	v_mul_f32_e32 v2, v7, v29
	v_fmac_f32_e32 v2, v6, v28
	s_delay_alu instid0(VALU_DEP_1) | instskip(NEXT) | instid1(VALU_DEP_1)
	v_cvt_f64_f32_e32 v[2:3], v2
	v_mul_f64 v[2:3], v[2:3], s[2:3]
	s_delay_alu instid0(VALU_DEP_1) | instskip(SKIP_1) | instid1(VALU_DEP_1)
	v_cvt_f32_f64_e32 v2, v[2:3]
	v_mul_f32_e32 v3, v7, v28
	v_fma_f32 v3, v6, v29, -v3
	s_delay_alu instid0(VALU_DEP_1) | instskip(NEXT) | instid1(VALU_DEP_1)
	v_cvt_f64_f32_e32 v[6:7], v3
	v_mul_f64 v[6:7], v[6:7], s[2:3]
	s_delay_alu instid0(VALU_DEP_1) | instskip(SKIP_1) | instid1(VALU_DEP_1)
	v_cvt_f32_f64_e32 v3, v[6:7]
	v_mad_u64_u32 v[6:7], null, s0, v18, 0
	v_mad_u64_u32 v[14:15], null, s1, v18, v[7:8]
	scratch_load_b32 v18, off, off offset:108 ; 4-byte Folded Reload
	v_mov_b32_e32 v7, v14
	s_delay_alu instid0(VALU_DEP_1) | instskip(NEXT) | instid1(VALU_DEP_1)
	v_lshlrev_b64 v[6:7], 3, v[6:7]
	v_add_co_u32 v6, vcc_lo, v32, v6
	s_delay_alu instid0(VALU_DEP_2) | instskip(SKIP_4) | instid1(VALU_DEP_1)
	v_add_co_ci_u32_e32 v7, vcc_lo, v33, v7, vcc_lo
	global_store_b64 v[6:7], v[2:3], off
	scratch_load_b64 v[6:7], off, off offset:136 ; 8-byte Folded Reload
	s_waitcnt vmcnt(0)
	v_mul_f32_e32 v2, v7, v27
	v_fmac_f32_e32 v2, v6, v26
	s_delay_alu instid0(VALU_DEP_1) | instskip(NEXT) | instid1(VALU_DEP_1)
	v_cvt_f64_f32_e32 v[2:3], v2
	v_mul_f64 v[2:3], v[2:3], s[2:3]
	s_delay_alu instid0(VALU_DEP_1) | instskip(SKIP_1) | instid1(VALU_DEP_1)
	v_cvt_f32_f64_e32 v2, v[2:3]
	v_mul_f32_e32 v3, v7, v26
	v_fma_f32 v3, v6, v27, -v3
	ds_load_2addr_b64 v[26:29], v167 offset0:64 offset1:160
	v_cvt_f64_f32_e32 v[6:7], v3
	s_delay_alu instid0(VALU_DEP_1) | instskip(NEXT) | instid1(VALU_DEP_1)
	v_mul_f64 v[6:7], v[6:7], s[2:3]
	v_cvt_f32_f64_e32 v3, v[6:7]
	v_add_co_u32 v6, vcc_lo, v10, s7
	v_add_co_ci_u32_e32 v7, vcc_lo, s6, v11, vcc_lo
	scratch_load_b64 v[10:11], off, off offset:128 ; 8-byte Folded Reload
	global_store_b64 v[6:7], v[2:3], off
	v_add_co_u32 v6, vcc_lo, v6, s5
	v_add_co_ci_u32_e32 v7, vcc_lo, s4, v7, vcc_lo
	s_waitcnt vmcnt(0) lgkmcnt(0)
	v_mul_f32_e32 v2, v11, v27
	s_delay_alu instid0(VALU_DEP_1) | instskip(NEXT) | instid1(VALU_DEP_1)
	v_fmac_f32_e32 v2, v10, v26
	v_cvt_f64_f32_e32 v[2:3], v2
	s_delay_alu instid0(VALU_DEP_1) | instskip(NEXT) | instid1(VALU_DEP_1)
	v_mul_f64 v[2:3], v[2:3], s[2:3]
	v_cvt_f32_f64_e32 v2, v[2:3]
	v_mul_f32_e32 v3, v11, v26
	s_delay_alu instid0(VALU_DEP_1) | instskip(NEXT) | instid1(VALU_DEP_1)
	v_fma_f32 v3, v10, v27, -v3
	v_cvt_f64_f32_e32 v[10:11], v3
	s_delay_alu instid0(VALU_DEP_1) | instskip(NEXT) | instid1(VALU_DEP_1)
	v_mul_f64 v[10:11], v[10:11], s[2:3]
	v_cvt_f32_f64_e32 v3, v[10:11]
	scratch_load_b64 v[10:11], off, off offset:120 ; 8-byte Folded Reload
	global_store_b64 v[6:7], v[2:3], off
	v_add_co_u32 v6, vcc_lo, v6, s5
	v_add_co_ci_u32_e32 v7, vcc_lo, s4, v7, vcc_lo
	s_waitcnt vmcnt(0)
	v_mul_f32_e32 v2, v11, v25
	s_delay_alu instid0(VALU_DEP_1) | instskip(NEXT) | instid1(VALU_DEP_1)
	v_fmac_f32_e32 v2, v10, v24
	v_cvt_f64_f32_e32 v[2:3], v2
	s_delay_alu instid0(VALU_DEP_1) | instskip(NEXT) | instid1(VALU_DEP_1)
	v_mul_f64 v[2:3], v[2:3], s[2:3]
	v_cvt_f32_f64_e32 v2, v[2:3]
	v_mul_f32_e32 v3, v11, v24
	s_delay_alu instid0(VALU_DEP_1) | instskip(SKIP_2) | instid1(VALU_DEP_1)
	v_fma_f32 v3, v10, v25, -v3
	ds_load_2addr_b64 v[24:27], v157 offset1:96
	v_cvt_f64_f32_e32 v[10:11], v3
	v_mul_f64 v[10:11], v[10:11], s[2:3]
	s_delay_alu instid0(VALU_DEP_1) | instskip(SKIP_4) | instid1(VALU_DEP_1)
	v_cvt_f32_f64_e32 v3, v[10:11]
	scratch_load_b64 v[10:11], off, off offset:112 ; 8-byte Folded Reload
	global_store_b64 v[6:7], v[2:3], off
	s_waitcnt vmcnt(0) lgkmcnt(0)
	v_mul_f32_e32 v2, v11, v25
	v_fmac_f32_e32 v2, v10, v24
	s_delay_alu instid0(VALU_DEP_1) | instskip(NEXT) | instid1(VALU_DEP_1)
	v_cvt_f64_f32_e32 v[2:3], v2
	v_mul_f64 v[2:3], v[2:3], s[2:3]
	s_delay_alu instid0(VALU_DEP_1) | instskip(SKIP_1) | instid1(VALU_DEP_1)
	v_cvt_f32_f64_e32 v2, v[2:3]
	v_mul_f32_e32 v3, v11, v24
	v_fma_f32 v3, v10, v25, -v3
	s_delay_alu instid0(VALU_DEP_1) | instskip(NEXT) | instid1(VALU_DEP_1)
	v_cvt_f64_f32_e32 v[10:11], v3
	v_mul_f64 v[10:11], v[10:11], s[2:3]
	s_delay_alu instid0(VALU_DEP_1) | instskip(SKIP_1) | instid1(VALU_DEP_1)
	v_cvt_f32_f64_e32 v3, v[10:11]
	v_mad_u64_u32 v[10:11], null, s0, v18, 0
	v_mad_u64_u32 v[14:15], null, s1, v18, v[11:12]
	s_delay_alu instid0(VALU_DEP_1) | instskip(NEXT) | instid1(VALU_DEP_1)
	v_mov_b32_e32 v11, v14
	v_lshlrev_b64 v[10:11], 3, v[10:11]
	s_delay_alu instid0(VALU_DEP_1) | instskip(NEXT) | instid1(VALU_DEP_2)
	v_add_co_u32 v10, vcc_lo, v32, v10
	v_add_co_ci_u32_e32 v11, vcc_lo, v33, v11, vcc_lo
	v_add_co_u32 v6, vcc_lo, v6, s7
	v_add_co_ci_u32_e32 v7, vcc_lo, s6, v7, vcc_lo
	global_store_b64 v[10:11], v[2:3], off
	scratch_load_b64 v[10:11], off, off offset:72 ; 8-byte Folded Reload
	s_waitcnt vmcnt(0)
	v_mul_f32_e32 v2, v11, v23
	s_delay_alu instid0(VALU_DEP_1) | instskip(NEXT) | instid1(VALU_DEP_1)
	v_fmac_f32_e32 v2, v10, v22
	v_cvt_f64_f32_e32 v[2:3], v2
	s_delay_alu instid0(VALU_DEP_1) | instskip(NEXT) | instid1(VALU_DEP_1)
	v_mul_f64 v[2:3], v[2:3], s[2:3]
	v_cvt_f32_f64_e32 v2, v[2:3]
	v_mul_f32_e32 v3, v11, v22
	s_delay_alu instid0(VALU_DEP_1) | instskip(SKIP_2) | instid1(VALU_DEP_1)
	v_fma_f32 v3, v10, v23, -v3
	ds_load_2addr_b64 v[22:25], v156 offset0:64 offset1:160
	v_cvt_f64_f32_e32 v[10:11], v3
	v_mul_f64 v[10:11], v[10:11], s[2:3]
	s_delay_alu instid0(VALU_DEP_1)
	v_cvt_f32_f64_e32 v3, v[10:11]
	scratch_load_b64 v[10:11], off, off offset:56 ; 8-byte Folded Reload
	global_store_b64 v[6:7], v[2:3], off
	v_add_co_u32 v6, vcc_lo, v6, s5
	v_add_co_ci_u32_e32 v7, vcc_lo, s4, v7, vcc_lo
	s_waitcnt vmcnt(0) lgkmcnt(0)
	v_mul_f32_e32 v2, v11, v23
	s_delay_alu instid0(VALU_DEP_1) | instskip(NEXT) | instid1(VALU_DEP_1)
	v_fmac_f32_e32 v2, v10, v22
	v_cvt_f64_f32_e32 v[2:3], v2
	s_delay_alu instid0(VALU_DEP_1) | instskip(NEXT) | instid1(VALU_DEP_1)
	v_mul_f64 v[2:3], v[2:3], s[2:3]
	v_cvt_f32_f64_e32 v2, v[2:3]
	v_mul_f32_e32 v3, v11, v22
	s_delay_alu instid0(VALU_DEP_1) | instskip(NEXT) | instid1(VALU_DEP_1)
	v_fma_f32 v3, v10, v23, -v3
	v_cvt_f64_f32_e32 v[10:11], v3
	s_delay_alu instid0(VALU_DEP_1) | instskip(NEXT) | instid1(VALU_DEP_1)
	v_mul_f64 v[10:11], v[10:11], s[2:3]
	v_cvt_f32_f64_e32 v3, v[10:11]
	scratch_load_b64 v[10:11], off, off offset:24 ; 8-byte Folded Reload
	global_store_b64 v[6:7], v[2:3], off
	v_add_co_u32 v6, vcc_lo, v6, s5
	v_add_co_ci_u32_e32 v7, vcc_lo, s4, v7, vcc_lo
	s_waitcnt vmcnt(0)
	v_mul_f32_e32 v2, v11, v21
	s_delay_alu instid0(VALU_DEP_1) | instskip(NEXT) | instid1(VALU_DEP_1)
	v_fmac_f32_e32 v2, v10, v20
	v_cvt_f64_f32_e32 v[2:3], v2
	s_delay_alu instid0(VALU_DEP_1) | instskip(NEXT) | instid1(VALU_DEP_1)
	v_mul_f64 v[2:3], v[2:3], s[2:3]
	v_cvt_f32_f64_e32 v2, v[2:3]
	v_mul_f32_e32 v3, v11, v20
	s_delay_alu instid0(VALU_DEP_1) | instskip(SKIP_2) | instid1(VALU_DEP_1)
	v_fma_f32 v3, v10, v21, -v3
	ds_load_2addr_b64 v[18:21], v153 offset0:128 offset1:224
	v_cvt_f64_f32_e32 v[10:11], v3
	v_mul_f64 v[10:11], v[10:11], s[2:3]
	s_delay_alu instid0(VALU_DEP_1) | instskip(SKIP_4) | instid1(VALU_DEP_1)
	v_cvt_f32_f64_e32 v3, v[10:11]
	scratch_load_b64 v[10:11], off, off offset:16 ; 8-byte Folded Reload
	global_store_b64 v[6:7], v[2:3], off
	s_waitcnt vmcnt(0) lgkmcnt(0)
	v_mul_f32_e32 v2, v11, v19
	v_fmac_f32_e32 v2, v10, v18
	s_delay_alu instid0(VALU_DEP_1) | instskip(NEXT) | instid1(VALU_DEP_1)
	v_cvt_f64_f32_e32 v[2:3], v2
	v_mul_f64 v[2:3], v[2:3], s[2:3]
	s_delay_alu instid0(VALU_DEP_1) | instskip(SKIP_3) | instid1(VALU_DEP_1)
	v_cvt_f32_f64_e32 v2, v[2:3]
	v_mul_f32_e32 v3, v11, v18
	scratch_load_b32 v18, off, off offset:152 ; 4-byte Folded Reload
	v_fma_f32 v3, v10, v19, -v3
	v_cvt_f64_f32_e32 v[10:11], v3
	s_delay_alu instid0(VALU_DEP_1) | instskip(NEXT) | instid1(VALU_DEP_1)
	v_mul_f64 v[10:11], v[10:11], s[2:3]
	v_cvt_f32_f64_e32 v3, v[10:11]
	s_waitcnt vmcnt(0)
	v_mad_u64_u32 v[10:11], null, s0, v18, 0
	s_delay_alu instid0(VALU_DEP_1) | instskip(NEXT) | instid1(VALU_DEP_1)
	v_mad_u64_u32 v[14:15], null, s1, v18, v[11:12]
	v_mov_b32_e32 v11, v14
	scratch_load_b32 v14, off, off offset:268 ; 4-byte Folded Reload
	v_lshlrev_b64 v[10:11], 3, v[10:11]
	s_delay_alu instid0(VALU_DEP_1) | instskip(NEXT) | instid1(VALU_DEP_2)
	v_add_co_u32 v10, vcc_lo, v32, v10
	v_add_co_ci_u32_e32 v11, vcc_lo, v33, v11, vcc_lo
	global_store_b64 v[10:11], v[2:3], off
	scratch_load_b64 v[10:11], off, off offset:8 ; 8-byte Folded Reload
	s_waitcnt vmcnt(0)
	v_mul_f32_e32 v2, v11, v17
	s_delay_alu instid0(VALU_DEP_1) | instskip(NEXT) | instid1(VALU_DEP_1)
	v_fmac_f32_e32 v2, v10, v16
	v_cvt_f64_f32_e32 v[2:3], v2
	s_delay_alu instid0(VALU_DEP_1) | instskip(NEXT) | instid1(VALU_DEP_1)
	v_mul_f64 v[2:3], v[2:3], s[2:3]
	v_cvt_f32_f64_e32 v2, v[2:3]
	v_mul_f32_e32 v3, v11, v16
	s_delay_alu instid0(VALU_DEP_1) | instskip(NEXT) | instid1(VALU_DEP_1)
	v_fma_f32 v3, v10, v17, -v3
	v_cvt_f64_f32_e32 v[10:11], v3
	s_delay_alu instid0(VALU_DEP_1) | instskip(NEXT) | instid1(VALU_DEP_1)
	v_mul_f64 v[10:11], v[10:11], s[2:3]
	v_cvt_f32_f64_e32 v3, v[10:11]
	v_mad_u64_u32 v[10:11], null, 0xffffbb00, s0, v[6:7]
	scratch_load_b64 v[6:7], off, off       ; 8-byte Folded Reload
	v_add_nc_u32_e32 v11, s8, v11
	global_store_b64 v[10:11], v[2:3], off
	s_waitcnt vmcnt(0)
	v_mul_f32_e32 v2, v7, v31
	s_delay_alu instid0(VALU_DEP_1) | instskip(NEXT) | instid1(VALU_DEP_1)
	v_fmac_f32_e32 v2, v6, v30
	v_cvt_f64_f32_e32 v[2:3], v2
	s_delay_alu instid0(VALU_DEP_1) | instskip(NEXT) | instid1(VALU_DEP_1)
	v_mul_f64 v[2:3], v[2:3], s[2:3]
	v_cvt_f32_f64_e32 v2, v[2:3]
	v_mul_f32_e32 v3, v7, v30
	s_delay_alu instid0(VALU_DEP_1) | instskip(NEXT) | instid1(VALU_DEP_1)
	v_fma_f32 v3, v6, v31, -v3
	v_cvt_f64_f32_e32 v[6:7], v3
	s_delay_alu instid0(VALU_DEP_1) | instskip(NEXT) | instid1(VALU_DEP_1)
	v_mul_f64 v[6:7], v[6:7], s[2:3]
	v_cvt_f32_f64_e32 v3, v[6:7]
	v_add_co_u32 v6, vcc_lo, v10, s5
	v_add_co_ci_u32_e32 v7, vcc_lo, s4, v11, vcc_lo
	scratch_load_b64 v[10:11], off, off offset:100 ; 8-byte Folded Reload
	global_store_b64 v[6:7], v[2:3], off
	s_waitcnt vmcnt(0)
	v_mul_f32_e32 v2, v11, v13
	s_delay_alu instid0(VALU_DEP_1) | instskip(NEXT) | instid1(VALU_DEP_1)
	v_fmac_f32_e32 v2, v10, v12
	v_cvt_f64_f32_e32 v[2:3], v2
	s_delay_alu instid0(VALU_DEP_1) | instskip(NEXT) | instid1(VALU_DEP_1)
	v_mul_f64 v[2:3], v[2:3], s[2:3]
	v_cvt_f32_f64_e32 v2, v[2:3]
	v_mul_f32_e32 v3, v11, v12
	s_delay_alu instid0(VALU_DEP_1) | instskip(NEXT) | instid1(VALU_DEP_1)
	v_fma_f32 v3, v10, v13, -v3
	v_cvt_f64_f32_e32 v[10:11], v3
	s_delay_alu instid0(VALU_DEP_1) | instskip(NEXT) | instid1(VALU_DEP_1)
	v_mul_f64 v[10:11], v[10:11], s[2:3]
	v_cvt_f32_f64_e32 v3, v[10:11]
	v_mad_u64_u32 v[10:11], null, s0, v14, 0
	s_delay_alu instid0(VALU_DEP_1) | instskip(NEXT) | instid1(VALU_DEP_1)
	v_mad_u64_u32 v[12:13], null, s1, v14, v[11:12]
	v_mov_b32_e32 v11, v12
	s_delay_alu instid0(VALU_DEP_1) | instskip(NEXT) | instid1(VALU_DEP_1)
	v_lshlrev_b64 v[10:11], 3, v[10:11]
	v_add_co_u32 v10, vcc_lo, v32, v10
	s_delay_alu instid0(VALU_DEP_2)
	v_add_co_ci_u32_e32 v11, vcc_lo, v33, v11, vcc_lo
	v_add_co_u32 v6, vcc_lo, v6, s7
	v_add_co_ci_u32_e32 v7, vcc_lo, s6, v7, vcc_lo
	global_store_b64 v[10:11], v[2:3], off
	scratch_load_b64 v[10:11], off, off offset:80 ; 8-byte Folded Reload
	s_waitcnt vmcnt(0)
	v_mul_f32_e32 v2, v11, v29
	s_delay_alu instid0(VALU_DEP_1) | instskip(NEXT) | instid1(VALU_DEP_1)
	v_fmac_f32_e32 v2, v10, v28
	v_cvt_f64_f32_e32 v[2:3], v2
	s_delay_alu instid0(VALU_DEP_1) | instskip(NEXT) | instid1(VALU_DEP_1)
	v_mul_f64 v[2:3], v[2:3], s[2:3]
	v_cvt_f32_f64_e32 v2, v[2:3]
	v_mul_f32_e32 v3, v11, v28
	s_delay_alu instid0(VALU_DEP_1) | instskip(NEXT) | instid1(VALU_DEP_1)
	v_fma_f32 v3, v10, v29, -v3
	v_cvt_f64_f32_e32 v[10:11], v3
	s_delay_alu instid0(VALU_DEP_1) | instskip(NEXT) | instid1(VALU_DEP_1)
	v_mul_f64 v[10:11], v[10:11], s[2:3]
	v_cvt_f32_f64_e32 v3, v[10:11]
	scratch_load_b64 v[10:11], off, off offset:64 ; 8-byte Folded Reload
	global_store_b64 v[6:7], v[2:3], off
	v_add_co_u32 v6, vcc_lo, v6, s5
	v_add_co_ci_u32_e32 v7, vcc_lo, s4, v7, vcc_lo
	s_waitcnt vmcnt(0)
	v_mul_f32_e32 v2, v11, v9
	s_delay_alu instid0(VALU_DEP_1) | instskip(NEXT) | instid1(VALU_DEP_1)
	v_fmac_f32_e32 v2, v10, v8
	v_cvt_f64_f32_e32 v[2:3], v2
	s_delay_alu instid0(VALU_DEP_1) | instskip(NEXT) | instid1(VALU_DEP_1)
	v_mul_f64 v[2:3], v[2:3], s[2:3]
	v_cvt_f32_f64_e32 v2, v[2:3]
	v_mul_f32_e32 v3, v11, v8
	s_delay_alu instid0(VALU_DEP_1) | instskip(SKIP_2) | instid1(VALU_DEP_1)
	v_fma_f32 v3, v10, v9, -v3
	scratch_load_b32 v10, off, off offset:88 ; 4-byte Folded Reload
	v_cvt_f64_f32_e32 v[8:9], v3
	v_mul_f64 v[8:9], v[8:9], s[2:3]
	s_delay_alu instid0(VALU_DEP_1)
	v_cvt_f32_f64_e32 v3, v[8:9]
	scratch_load_b64 v[8:9], off, off offset:32 ; 8-byte Folded Reload
	global_store_b64 v[6:7], v[2:3], off
	v_add_co_u32 v6, vcc_lo, v6, s5
	v_add_co_ci_u32_e32 v7, vcc_lo, s4, v7, vcc_lo
	s_waitcnt vmcnt(0)
	v_mul_f32_e32 v2, v9, v27
	s_delay_alu instid0(VALU_DEP_1) | instskip(NEXT) | instid1(VALU_DEP_1)
	v_fmac_f32_e32 v2, v8, v26
	v_cvt_f64_f32_e32 v[2:3], v2
	s_delay_alu instid0(VALU_DEP_1) | instskip(NEXT) | instid1(VALU_DEP_1)
	v_mul_f64 v[2:3], v[2:3], s[2:3]
	v_cvt_f32_f64_e32 v2, v[2:3]
	v_mul_f32_e32 v3, v9, v26
	s_delay_alu instid0(VALU_DEP_1) | instskip(NEXT) | instid1(VALU_DEP_1)
	v_fma_f32 v3, v8, v27, -v3
	v_cvt_f64_f32_e32 v[8:9], v3
	s_delay_alu instid0(VALU_DEP_1) | instskip(NEXT) | instid1(VALU_DEP_1)
	v_mul_f64 v[8:9], v[8:9], s[2:3]
	v_cvt_f32_f64_e32 v3, v[8:9]
	scratch_load_b64 v[8:9], off, off offset:92 ; 8-byte Folded Reload
	global_store_b64 v[6:7], v[2:3], off
	s_waitcnt vmcnt(0)
	v_mul_f32_e32 v2, v9, v5
	s_delay_alu instid0(VALU_DEP_1) | instskip(NEXT) | instid1(VALU_DEP_1)
	v_fmac_f32_e32 v2, v8, v4
	v_cvt_f64_f32_e32 v[2:3], v2
	s_delay_alu instid0(VALU_DEP_1) | instskip(NEXT) | instid1(VALU_DEP_1)
	v_mul_f64 v[2:3], v[2:3], s[2:3]
	v_cvt_f32_f64_e32 v2, v[2:3]
	v_mul_f32_e32 v3, v9, v4
	s_delay_alu instid0(VALU_DEP_1) | instskip(NEXT) | instid1(VALU_DEP_1)
	v_fma_f32 v3, v8, v5, -v3
	v_cvt_f64_f32_e32 v[3:4], v3
	s_delay_alu instid0(VALU_DEP_1) | instskip(NEXT) | instid1(VALU_DEP_1)
	v_mul_f64 v[3:4], v[3:4], s[2:3]
	v_cvt_f32_f64_e32 v3, v[3:4]
	v_mad_u64_u32 v[4:5], null, s0, v10, 0
	s_delay_alu instid0(VALU_DEP_1) | instskip(NEXT) | instid1(VALU_DEP_1)
	v_mad_u64_u32 v[8:9], null, s1, v10, v[5:6]
	v_mov_b32_e32 v5, v8
	s_delay_alu instid0(VALU_DEP_1) | instskip(NEXT) | instid1(VALU_DEP_1)
	v_lshlrev_b64 v[4:5], 3, v[4:5]
	v_add_co_u32 v4, vcc_lo, v32, v4
	s_delay_alu instid0(VALU_DEP_2)
	v_add_co_ci_u32_e32 v5, vcc_lo, v33, v5, vcc_lo
	global_store_b64 v[4:5], v[2:3], off
	scratch_load_b64 v[3:4], off, off offset:144 ; 8-byte Folded Reload
	s_waitcnt vmcnt(0)
	v_mul_f32_e32 v2, v4, v25
	v_mov_b32_e32 v5, v4
	v_mov_b32_e32 v4, v3
	s_delay_alu instid0(VALU_DEP_3) | instskip(NEXT) | instid1(VALU_DEP_1)
	v_fmac_f32_e32 v2, v3, v24
	v_cvt_f64_f32_e32 v[2:3], v2
	s_delay_alu instid0(VALU_DEP_1) | instskip(NEXT) | instid1(VALU_DEP_1)
	v_mul_f64 v[2:3], v[2:3], s[2:3]
	v_cvt_f32_f64_e32 v2, v[2:3]
	v_mul_f32_e32 v3, v5, v24
	s_delay_alu instid0(VALU_DEP_1) | instskip(NEXT) | instid1(VALU_DEP_1)
	v_fma_f32 v3, v4, v25, -v3
	v_cvt_f64_f32_e32 v[3:4], v3
	s_delay_alu instid0(VALU_DEP_1) | instskip(NEXT) | instid1(VALU_DEP_1)
	v_mul_f64 v[3:4], v[3:4], s[2:3]
	v_cvt_f32_f64_e32 v3, v[3:4]
	v_add_co_u32 v4, vcc_lo, v6, s7
	v_add_co_ci_u32_e32 v5, vcc_lo, s6, v7, vcc_lo
	scratch_load_b64 v[6:7], off, off offset:40 ; 8-byte Folded Reload
	global_store_b64 v[4:5], v[2:3], off
	s_waitcnt vmcnt(0)
	v_mul_f32_e32 v2, v7, v1
	s_delay_alu instid0(VALU_DEP_1) | instskip(SKIP_1) | instid1(VALU_DEP_2)
	v_fmac_f32_e32 v2, v6, v0
	v_mul_f32_e32 v0, v7, v0
	v_cvt_f64_f32_e32 v[2:3], v2
	s_delay_alu instid0(VALU_DEP_2) | instskip(NEXT) | instid1(VALU_DEP_1)
	v_fma_f32 v0, v6, v1, -v0
	v_cvt_f64_f32_e32 v[0:1], v0
	s_delay_alu instid0(VALU_DEP_3) | instskip(NEXT) | instid1(VALU_DEP_2)
	v_mul_f64 v[2:3], v[2:3], s[2:3]
	v_mul_f64 v[0:1], v[0:1], s[2:3]
	s_delay_alu instid0(VALU_DEP_2) | instskip(NEXT) | instid1(VALU_DEP_2)
	v_cvt_f32_f64_e32 v2, v[2:3]
	v_cvt_f32_f64_e32 v3, v[0:1]
	v_add_co_u32 v0, vcc_lo, v4, s5
	v_add_co_ci_u32_e32 v1, vcc_lo, s4, v5, vcc_lo
	global_store_b64 v[0:1], v[2:3], off
	scratch_load_b64 v[3:4], off, off offset:48 ; 8-byte Folded Reload
	v_add_co_u32 v0, vcc_lo, v0, s5
	v_add_co_ci_u32_e32 v1, vcc_lo, s4, v1, vcc_lo
	s_waitcnt vmcnt(0)
	v_mul_f32_e32 v2, v4, v21
	v_mov_b32_e32 v5, v4
	v_mov_b32_e32 v4, v3
	s_delay_alu instid0(VALU_DEP_3) | instskip(NEXT) | instid1(VALU_DEP_1)
	v_fmac_f32_e32 v2, v3, v20
	v_cvt_f64_f32_e32 v[2:3], v2
	s_delay_alu instid0(VALU_DEP_1) | instskip(NEXT) | instid1(VALU_DEP_1)
	v_mul_f64 v[2:3], v[2:3], s[2:3]
	v_cvt_f32_f64_e32 v2, v[2:3]
	v_mul_f32_e32 v3, v5, v20
	s_delay_alu instid0(VALU_DEP_1) | instskip(NEXT) | instid1(VALU_DEP_1)
	v_fma_f32 v3, v4, v21, -v3
	v_cvt_f64_f32_e32 v[3:4], v3
	s_delay_alu instid0(VALU_DEP_1) | instskip(NEXT) | instid1(VALU_DEP_1)
	v_mul_f64 v[3:4], v[3:4], s[2:3]
	v_cvt_f32_f64_e32 v3, v[3:4]
	global_store_b64 v[0:1], v[2:3], off
.LBB0_2:
	s_nop 0
	s_sendmsg sendmsg(MSG_DEALLOC_VGPRS)
	s_endpgm
	.section	.rodata,"a",@progbits
	.p2align	6, 0x0
	.amdhsa_kernel bluestein_single_fwd_len2880_dim1_sp_op_CI_CI
		.amdhsa_group_segment_fixed_size 23040
		.amdhsa_private_segment_fixed_size 516
		.amdhsa_kernarg_size 104
		.amdhsa_user_sgpr_count 15
		.amdhsa_user_sgpr_dispatch_ptr 0
		.amdhsa_user_sgpr_queue_ptr 0
		.amdhsa_user_sgpr_kernarg_segment_ptr 1
		.amdhsa_user_sgpr_dispatch_id 0
		.amdhsa_user_sgpr_private_segment_size 0
		.amdhsa_wavefront_size32 1
		.amdhsa_uses_dynamic_stack 0
		.amdhsa_enable_private_segment 1
		.amdhsa_system_sgpr_workgroup_id_x 1
		.amdhsa_system_sgpr_workgroup_id_y 0
		.amdhsa_system_sgpr_workgroup_id_z 0
		.amdhsa_system_sgpr_workgroup_info 0
		.amdhsa_system_vgpr_workitem_id 0
		.amdhsa_next_free_vgpr 256
		.amdhsa_next_free_sgpr 20
		.amdhsa_reserve_vcc 1
		.amdhsa_float_round_mode_32 0
		.amdhsa_float_round_mode_16_64 0
		.amdhsa_float_denorm_mode_32 3
		.amdhsa_float_denorm_mode_16_64 3
		.amdhsa_dx10_clamp 1
		.amdhsa_ieee_mode 1
		.amdhsa_fp16_overflow 0
		.amdhsa_workgroup_processor_mode 1
		.amdhsa_memory_ordered 1
		.amdhsa_forward_progress 0
		.amdhsa_shared_vgpr_count 0
		.amdhsa_exception_fp_ieee_invalid_op 0
		.amdhsa_exception_fp_denorm_src 0
		.amdhsa_exception_fp_ieee_div_zero 0
		.amdhsa_exception_fp_ieee_overflow 0
		.amdhsa_exception_fp_ieee_underflow 0
		.amdhsa_exception_fp_ieee_inexact 0
		.amdhsa_exception_int_div_zero 0
	.end_amdhsa_kernel
	.text
.Lfunc_end0:
	.size	bluestein_single_fwd_len2880_dim1_sp_op_CI_CI, .Lfunc_end0-bluestein_single_fwd_len2880_dim1_sp_op_CI_CI
                                        ; -- End function
	.section	.AMDGPU.csdata,"",@progbits
; Kernel info:
; codeLenInByte = 34052
; NumSgprs: 22
; NumVgprs: 256
; ScratchSize: 516
; MemoryBound: 0
; FloatMode: 240
; IeeeMode: 1
; LDSByteSize: 23040 bytes/workgroup (compile time only)
; SGPRBlocks: 2
; VGPRBlocks: 31
; NumSGPRsForWavesPerEU: 22
; NumVGPRsForWavesPerEU: 256
; Occupancy: 4
; WaveLimiterHint : 1
; COMPUTE_PGM_RSRC2:SCRATCH_EN: 1
; COMPUTE_PGM_RSRC2:USER_SGPR: 15
; COMPUTE_PGM_RSRC2:TRAP_HANDLER: 0
; COMPUTE_PGM_RSRC2:TGID_X_EN: 1
; COMPUTE_PGM_RSRC2:TGID_Y_EN: 0
; COMPUTE_PGM_RSRC2:TGID_Z_EN: 0
; COMPUTE_PGM_RSRC2:TIDIG_COMP_CNT: 0
	.text
	.p2alignl 7, 3214868480
	.fill 96, 4, 3214868480
	.type	__hip_cuid_95b312157c425042,@object ; @__hip_cuid_95b312157c425042
	.section	.bss,"aw",@nobits
	.globl	__hip_cuid_95b312157c425042
__hip_cuid_95b312157c425042:
	.byte	0                               ; 0x0
	.size	__hip_cuid_95b312157c425042, 1

	.ident	"AMD clang version 19.0.0git (https://github.com/RadeonOpenCompute/llvm-project roc-6.4.0 25133 c7fe45cf4b819c5991fe208aaa96edf142730f1d)"
	.section	".note.GNU-stack","",@progbits
	.addrsig
	.addrsig_sym __hip_cuid_95b312157c425042
	.amdgpu_metadata
---
amdhsa.kernels:
  - .args:
      - .actual_access:  read_only
        .address_space:  global
        .offset:         0
        .size:           8
        .value_kind:     global_buffer
      - .actual_access:  read_only
        .address_space:  global
        .offset:         8
        .size:           8
        .value_kind:     global_buffer
      - .actual_access:  read_only
        .address_space:  global
        .offset:         16
        .size:           8
        .value_kind:     global_buffer
      - .actual_access:  read_only
        .address_space:  global
        .offset:         24
        .size:           8
        .value_kind:     global_buffer
      - .actual_access:  read_only
        .address_space:  global
        .offset:         32
        .size:           8
        .value_kind:     global_buffer
      - .offset:         40
        .size:           8
        .value_kind:     by_value
      - .address_space:  global
        .offset:         48
        .size:           8
        .value_kind:     global_buffer
      - .address_space:  global
        .offset:         56
        .size:           8
        .value_kind:     global_buffer
      - .address_space:  global
        .offset:         64
        .size:           8
        .value_kind:     global_buffer
      - .address_space:  global
        .offset:         72
        .size:           8
        .value_kind:     global_buffer
      - .offset:         80
        .size:           4
        .value_kind:     by_value
      - .address_space:  global
        .offset:         88
        .size:           8
        .value_kind:     global_buffer
      - .address_space:  global
        .offset:         96
        .size:           8
        .value_kind:     global_buffer
    .group_segment_fixed_size: 23040
    .kernarg_segment_align: 8
    .kernarg_segment_size: 104
    .language:       OpenCL C
    .language_version:
      - 2
      - 0
    .max_flat_workgroup_size: 96
    .name:           bluestein_single_fwd_len2880_dim1_sp_op_CI_CI
    .private_segment_fixed_size: 516
    .sgpr_count:     22
    .sgpr_spill_count: 0
    .symbol:         bluestein_single_fwd_len2880_dim1_sp_op_CI_CI.kd
    .uniform_work_group_size: 1
    .uses_dynamic_stack: false
    .vgpr_count:     256
    .vgpr_spill_count: 128
    .wavefront_size: 32
    .workgroup_processor_mode: 1
amdhsa.target:   amdgcn-amd-amdhsa--gfx1100
amdhsa.version:
  - 1
  - 2
...

	.end_amdgpu_metadata
